;; amdgpu-corpus repo=ROCm/rocFFT kind=compiled arch=gfx1201 opt=O3
	.text
	.amdgcn_target "amdgcn-amd-amdhsa--gfx1201"
	.amdhsa_code_object_version 6
	.protected	bluestein_single_back_len255_dim1_dp_op_CI_CI ; -- Begin function bluestein_single_back_len255_dim1_dp_op_CI_CI
	.globl	bluestein_single_back_len255_dim1_dp_op_CI_CI
	.p2align	8
	.type	bluestein_single_back_len255_dim1_dp_op_CI_CI,@function
bluestein_single_back_len255_dim1_dp_op_CI_CI: ; @bluestein_single_back_len255_dim1_dp_op_CI_CI
; %bb.0:
	s_load_b128 s[4:7], s[0:1], 0x28
	v_mul_u32_u24_e32 v1, 0xf10, v0
	s_mov_b32 s2, exec_lo
	s_delay_alu instid0(VALU_DEP_1) | instskip(NEXT) | instid1(VALU_DEP_1)
	v_lshrrev_b32_e32 v1, 16, v1
	v_mad_co_u64_u32 v[206:207], null, ttmp9, 3, v[1:2]
	v_mov_b32_e32 v207, 0
	s_wait_kmcnt 0x0
	s_delay_alu instid0(VALU_DEP_1)
	v_cmpx_gt_u64_e64 s[4:5], v[206:207]
	s_cbranch_execz .LBB0_15
; %bb.1:
	v_mul_hi_u32 v2, 0xaaaaaaab, v206
	v_mul_lo_u16 v1, v1, 17
	s_clause 0x1
	s_load_b64 s[12:13], s[0:1], 0x0
	s_load_b64 s[14:15], s[0:1], 0x38
	s_delay_alu instid0(VALU_DEP_1) | instskip(NEXT) | instid1(VALU_DEP_3)
	v_sub_nc_u16 v0, v0, v1
	v_lshrrev_b32_e32 v2, 1, v2
	s_delay_alu instid0(VALU_DEP_2) | instskip(SKIP_1) | instid1(VALU_DEP_3)
	v_and_b32_e32 v250, 0xffff, v0
	v_cmp_gt_u16_e32 vcc_lo, 15, v0
	v_lshl_add_u32 v2, v2, 1, v2
	s_delay_alu instid0(VALU_DEP_3) | instskip(SKIP_1) | instid1(VALU_DEP_3)
	v_lshlrev_b32_e32 v152, 4, v250
	v_or_b32_e32 v205, 0xf0, v250
	v_sub_nc_u32_e32 v1, v206, v2
	s_delay_alu instid0(VALU_DEP_1) | instskip(NEXT) | instid1(VALU_DEP_1)
	v_mul_u32_u24_e32 v251, 0xff, v1
	v_lshlrev_b32_e32 v248, 4, v251
	s_and_saveexec_b32 s3, vcc_lo
	s_cbranch_execz .LBB0_3
; %bb.2:
	s_load_b64 s[4:5], s[0:1], 0x18
	s_wait_kmcnt 0x0
	s_load_b128 s[8:11], s[4:5], 0x0
	s_clause 0x7
	global_load_b128 v[0:3], v152, s[12:13]
	global_load_b128 v[4:7], v152, s[12:13] offset:240
	global_load_b128 v[8:11], v152, s[12:13] offset:480
	;; [unrolled: 1-line block ×7, first 2 shown]
	s_wait_kmcnt 0x0
	v_mad_co_u64_u32 v[56:57], null, s10, v206, 0
	v_mad_co_u64_u32 v[60:61], null, s8, v250, 0
	;; [unrolled: 1-line block ×3, first 2 shown]
	s_mul_u64 s[4:5], s[8:9], 0xf0
	s_delay_alu instid0(VALU_DEP_2) | instskip(NEXT) | instid1(VALU_DEP_1)
	v_dual_mov_b32 v32, v57 :: v_dual_mov_b32 v33, v61
	v_mad_co_u64_u32 v[48:49], null, s11, v206, v[32:33]
	v_mad_co_u64_u32 v[58:59], null, s9, v250, v[33:34]
	s_clause 0x3
	global_load_b128 v[32:35], v152, s[12:13] offset:1920
	global_load_b128 v[36:39], v152, s[12:13] offset:2160
	global_load_b128 v[40:43], v152, s[12:13] offset:2400
	global_load_b128 v[44:47], v152, s[12:13] offset:2640
	v_mov_b32_e32 v57, v48
	s_clause 0x1
	global_load_b128 v[48:51], v152, s[12:13] offset:2880
	global_load_b128 v[52:55], v152, s[12:13] offset:3120
	v_mov_b32_e32 v61, v58
	v_lshlrev_b64_e32 v[64:65], 4, v[56:57]
	global_load_b128 v[56:59], v152, s[12:13] offset:3840
	v_lshlrev_b64_e32 v[60:61], 4, v[60:61]
	v_mad_co_u64_u32 v[66:67], null, s9, v205, v[63:64]
	v_add_co_u32 v67, s2, s6, v64
	s_delay_alu instid0(VALU_DEP_1) | instskip(NEXT) | instid1(VALU_DEP_2)
	v_add_co_ci_u32_e64 v70, s2, s7, v65, s2
	v_add_co_u32 v64, s2, v67, v60
	s_wait_alu 0xf1ff
	s_delay_alu instid0(VALU_DEP_2)
	v_add_co_ci_u32_e64 v65, s2, v70, v61, s2
	v_mov_b32_e32 v63, v66
	s_wait_alu 0xfffe
	v_add_co_u32 v68, s2, v64, s4
	s_wait_alu 0xf1ff
	v_add_co_ci_u32_e64 v69, s2, s5, v65, s2
	v_lshlrev_b64_e32 v[60:61], 4, v[62:63]
	s_delay_alu instid0(VALU_DEP_3) | instskip(SKIP_1) | instid1(VALU_DEP_3)
	v_add_co_u32 v72, s2, v68, s4
	s_wait_alu 0xf1ff
	v_add_co_ci_u32_e64 v73, s2, s5, v69, s2
	s_delay_alu instid0(VALU_DEP_3)
	v_add_co_u32 v60, s2, v67, v60
	s_wait_alu 0xf1ff
	v_add_co_ci_u32_e64 v61, s2, v70, v61, s2
	v_add_co_u32 v76, s2, v72, s4
	s_wait_alu 0xf1ff
	v_add_co_ci_u32_e64 v77, s2, s5, v73, s2
	global_load_b128 v[60:63], v[60:61], off
	v_add_co_u32 v80, s2, v76, s4
	s_wait_alu 0xf1ff
	v_add_co_ci_u32_e64 v81, s2, s5, v77, s2
	s_clause 0x1
	global_load_b128 v[64:67], v[64:65], off
	global_load_b128 v[68:71], v[68:69], off
	v_add_co_u32 v84, s2, v80, s4
	s_wait_alu 0xf1ff
	v_add_co_ci_u32_e64 v85, s2, s5, v81, s2
	s_clause 0x1
	global_load_b128 v[72:75], v[72:73], off
	global_load_b128 v[76:79], v[76:77], off
	v_add_co_u32 v88, s2, v84, s4
	s_wait_alu 0xf1ff
	v_add_co_ci_u32_e64 v89, s2, s5, v85, s2
	global_load_b128 v[80:83], v[80:81], off
	v_add_co_u32 v92, s2, v88, s4
	s_wait_alu 0xf1ff
	v_add_co_ci_u32_e64 v93, s2, s5, v89, s2
	;; [unrolled: 4-line block ×10, first 2 shown]
	global_load_b128 v[116:119], v[116:117], off
	global_load_b128 v[120:123], v[120:121], off
	s_clause 0x1
	global_load_b128 v[124:127], v152, s[12:13] offset:3360
	global_load_b128 v[128:131], v152, s[12:13] offset:3600
	global_load_b128 v[132:135], v[132:133], off
	s_wait_loadcnt 0x12
	v_mul_f64_e32 v[138:139], v[62:63], v[58:59]
	v_mul_f64_e32 v[171:172], v[60:61], v[58:59]
	s_wait_loadcnt 0x11
	v_mul_f64_e32 v[136:137], v[66:67], v[2:3]
	v_mul_f64_e32 v[2:3], v[64:65], v[2:3]
	;; [unrolled: 3-line block ×11, first 2 shown]
	v_fma_f64 v[64:65], v[64:65], v[0:1], v[136:137]
	v_fma_f64 v[66:67], v[66:67], v[0:1], -v[2:3]
	v_fma_f64 v[0:1], v[60:61], v[56:57], v[138:139]
	s_wait_loadcnt 0x7
	v_mul_f64_e32 v[159:160], v[106:107], v[42:43]
	v_mul_f64_e32 v[42:43], v[104:105], v[42:43]
	v_fma_f64 v[58:59], v[68:69], v[4:5], v[140:141]
	v_fma_f64 v[60:61], v[70:71], v[4:5], -v[6:7]
	v_fma_f64 v[4:5], v[72:73], v[8:9], v[142:143]
	s_wait_loadcnt 0x6
	v_mul_f64_e32 v[161:162], v[110:111], v[46:47]
	v_mul_f64_e32 v[46:47], v[108:109], v[46:47]
	v_fma_f64 v[6:7], v[74:75], v[8:9], -v[10:11]
	v_fma_f64 v[8:9], v[76:77], v[12:13], v[144:145]
	v_fma_f64 v[10:11], v[78:79], v[12:13], -v[14:15]
	s_wait_loadcnt 0x5
	v_mul_f64_e32 v[163:164], v[114:115], v[50:51]
	v_mul_f64_e32 v[50:51], v[112:113], v[50:51]
	s_wait_loadcnt 0x4
	v_mul_f64_e32 v[165:166], v[118:119], v[54:55]
	v_mul_f64_e32 v[54:55], v[116:117], v[54:55]
	;; [unrolled: 3-line block ×4, first 2 shown]
	v_fma_f64 v[12:13], v[80:81], v[16:17], v[146:147]
	v_fma_f64 v[14:15], v[82:83], v[16:17], -v[18:19]
	v_fma_f64 v[16:17], v[84:85], v[20:21], v[148:149]
	v_fma_f64 v[18:19], v[86:87], v[20:21], -v[22:23]
	;; [unrolled: 2-line block ×4, first 2 shown]
	v_fma_f64 v[2:3], v[62:63], v[56:57], -v[171:172]
	v_lshl_add_u32 v56, v250, 4, v248
	v_fma_f64 v[28:29], v[96:97], v[32:33], v[155:156]
	v_fma_f64 v[30:31], v[98:99], v[32:33], -v[34:35]
	v_add_nc_u32_e32 v57, v248, v152
	v_fma_f64 v[32:33], v[100:101], v[36:37], v[157:158]
	v_fma_f64 v[34:35], v[102:103], v[36:37], -v[38:39]
	v_fma_f64 v[36:37], v[104:105], v[40:41], v[159:160]
	v_fma_f64 v[38:39], v[106:107], v[40:41], -v[42:43]
	;; [unrolled: 2-line block ×7, first 2 shown]
	ds_store_b128 v56, v[64:67]
	ds_store_b128 v57, v[58:61] offset:240
	ds_store_b128 v57, v[4:7] offset:480
	;; [unrolled: 1-line block ×16, first 2 shown]
.LBB0_3:
	s_or_b32 exec_lo, exec_lo, s3
	s_clause 0x1
	s_load_b64 s[4:5], s[0:1], 0x20
	s_load_b64 s[2:3], s[0:1], 0x8
	global_wb scope:SCOPE_SE
	s_wait_dscnt 0x0
	s_wait_kmcnt 0x0
	s_barrier_signal -1
	s_barrier_wait -1
	global_inv scope:SCOPE_SE
                                        ; implicit-def: $vgpr8_vgpr9
                                        ; implicit-def: $vgpr28_vgpr29
                                        ; implicit-def: $vgpr36_vgpr37
                                        ; implicit-def: $vgpr40_vgpr41
                                        ; implicit-def: $vgpr44_vgpr45
                                        ; implicit-def: $vgpr52_vgpr53
                                        ; implicit-def: $vgpr56_vgpr57
                                        ; implicit-def: $vgpr64_vgpr65
                                        ; implicit-def: $vgpr68_vgpr69
                                        ; implicit-def: $vgpr72_vgpr73
                                        ; implicit-def: $vgpr60_vgpr61
                                        ; implicit-def: $vgpr48_vgpr49
                                        ; implicit-def: $vgpr32_vgpr33
                                        ; implicit-def: $vgpr24_vgpr25
                                        ; implicit-def: $vgpr20_vgpr21
                                        ; implicit-def: $vgpr16_vgpr17
                                        ; implicit-def: $vgpr12_vgpr13
	s_and_saveexec_b32 s0, vcc_lo
	s_cbranch_execz .LBB0_5
; %bb.4:
	v_lshl_add_u32 v0, v251, 4, v152
	ds_load_b128 v[8:11], v0
	ds_load_b128 v[28:31], v0 offset:240
	ds_load_b128 v[36:39], v0 offset:480
	;; [unrolled: 1-line block ×16, first 2 shown]
.LBB0_5:
	s_wait_alu 0xfffe
	s_or_b32 exec_lo, exec_lo, s0
	s_wait_dscnt 0x0
	v_add_f64_e64 v[163:164], v[30:31], -v[14:15]
	v_add_f64_e64 v[169:170], v[28:29], -v[12:13]
	s_mov_b32 s0, 0x5d8e7cdc
	s_mov_b32 s8, 0x2a9d6da3
	s_mov_b32 s1, 0xbfd71e95
	s_mov_b32 s9, 0xbfe58eea
	v_add_f64_e32 v[161:162], v[28:29], v[12:13]
	v_add_f64_e32 v[167:168], v[30:31], v[14:15]
	v_add_f64_e64 v[90:91], v[38:39], -v[18:19]
	v_add_f64_e64 v[76:77], v[36:37], -v[16:17]
	s_mov_b32 s6, 0x370991
	s_mov_b32 s10, 0x75d4884
	s_mov_b32 s20, 0xeb564b22
	s_mov_b32 s7, 0x3fedd6d0
	s_mov_b32 s11, 0x3fe7a5f6
	s_mov_b32 s21, 0xbfefdd0d
	v_add_f64_e32 v[78:79], v[36:37], v[16:17]
	v_add_f64_e32 v[94:95], v[38:39], v[18:19]
	v_add_f64_e64 v[96:97], v[42:43], -v[22:23]
	v_add_f64_e64 v[80:81], v[40:41], -v[20:21]
	s_mov_b32 s16, 0x3259b75e
	s_mov_b32 s26, 0x7c9e640b
	;; [unrolled: 10-line block ×3, first 2 shown]
	s_mov_b32 s24, 0xacd6c6b4
	s_mov_b32 s29, 0x3fdc86fa
	s_mov_b32 s23, 0xbfe348c8
	s_mov_b32 s25, 0xbfc7851a
	v_add_f64_e32 v[86:87], v[44:45], v[24:25]
	v_add_f64_e32 v[110:111], v[46:47], v[26:27]
	s_wait_alu 0xfffe
	v_mul_f64_e32 v[177:178], s[0:1], v[163:164]
	v_mul_f64_e32 v[185:186], s[0:1], v[169:170]
	v_mul_f64_e32 v[187:188], s[8:9], v[163:164]
	v_mul_f64_e32 v[193:194], s[8:9], v[169:170]
	v_add_f64_e64 v[88:89], v[52:53], -v[32:33]
	v_add_f64_e64 v[114:115], v[54:55], -v[34:35]
	s_mov_b32 s30, 0x7faef3
	s_mov_b32 s34, 0x923c349f
	v_mul_f64_e32 v[136:137], s[8:9], v[90:91]
	v_mul_f64_e32 v[138:139], s[8:9], v[76:77]
	;; [unrolled: 1-line block ×4, first 2 shown]
	s_mov_b32 s36, 0x4363dd80
	s_mov_b32 s31, 0xbfef7484
	;; [unrolled: 1-line block ×4, first 2 shown]
	v_add_f64_e32 v[118:119], v[54:55], v[34:35]
	v_add_f64_e64 v[120:121], v[58:59], -v[50:51]
	v_mul_f64_e32 v[144:145], s[26:27], v[96:97]
	v_mul_f64_e32 v[148:149], s[26:27], v[80:81]
	;; [unrolled: 1-line block ×4, first 2 shown]
	s_mov_b32 s40, 0xc61f0d01
	s_mov_b32 s38, 0x910ea3b9
	;; [unrolled: 1-line block ×6, first 2 shown]
	v_mul_f64_e32 v[159:160], s[20:21], v[84:85]
	v_mul_f64_e32 v[153:154], s[20:21], v[106:107]
	;; [unrolled: 1-line block ×4, first 2 shown]
	v_add_f64_e64 v[124:125], v[66:67], -v[62:63]
	s_mov_b32 s47, 0xbfe0d888
	s_mov_b32 s43, 0x3feca52d
	;; [unrolled: 1-line block ×5, first 2 shown]
	v_fma_f64 v[0:1], v[161:162], s[6:7], v[177:178]
	v_fma_f64 v[2:3], v[167:168], s[6:7], -v[185:186]
	v_fma_f64 v[4:5], v[161:162], s[10:11], v[187:188]
	v_fma_f64 v[6:7], v[167:168], s[10:11], -v[193:194]
	v_mul_f64_e32 v[175:176], s[34:35], v[88:89]
	v_mul_f64_e32 v[173:174], s[34:35], v[114:115]
	;; [unrolled: 1-line block ×4, first 2 shown]
	v_fma_f64 v[92:93], v[78:79], s[10:11], v[136:137]
	v_fma_f64 v[98:99], v[94:95], s[10:11], -v[138:139]
	v_fma_f64 v[102:103], v[78:79], s[16:17], v[126:127]
	v_fma_f64 v[104:105], v[94:95], s[16:17], -v[130:131]
	s_mov_b32 s44, s0
	global_wb scope:SCOPE_SE
	s_barrier_signal -1
	s_barrier_wait -1
	global_inv scope:SCOPE_SE
	v_mul_f64_e32 v[183:184], s[18:19], v[120:121]
	v_fma_f64 v[108:109], v[82:83], s[28:29], v[144:145]
	v_fma_f64 v[112:113], v[100:101], s[28:29], -v[148:149]
	v_fma_f64 v[116:117], v[82:83], s[22:23], v[140:141]
	v_fma_f64 v[122:123], v[100:101], s[22:23], -v[142:143]
	v_mul_f64_e32 v[165:166], s[48:49], v[120:121]
	v_fma_f64 v[132:133], v[110:111], s[16:17], -v[159:160]
	v_fma_f64 v[128:129], v[86:87], s[16:17], v[153:154]
	v_fma_f64 v[134:135], v[86:87], s[30:31], v[146:147]
	v_fma_f64 v[179:180], v[110:111], s[30:31], -v[150:151]
	v_mul_f64_e32 v[197:198], s[46:47], v[124:125]
	v_add_f64_e32 v[0:1], v[8:9], v[0:1]
	v_add_f64_e32 v[2:3], v[10:11], v[2:3]
	;; [unrolled: 1-line block ×4, first 2 shown]
	v_fma_f64 v[191:192], v[118:119], s[40:41], -v[175:176]
	v_fma_f64 v[201:202], v[118:119], s[38:39], -v[157:158]
	v_add_f64_e32 v[0:1], v[92:93], v[0:1]
	v_add_f64_e32 v[2:3], v[98:99], v[2:3]
	;; [unrolled: 1-line block ×5, first 2 shown]
	v_add_f64_e64 v[98:99], v[56:57], -v[48:49]
	v_add_f64_e32 v[102:103], v[56:57], v[48:49]
	v_add_f64_e64 v[104:105], v[64:65], -v[60:61]
	v_add_f64_e32 v[0:1], v[108:109], v[0:1]
	v_add_f64_e32 v[2:3], v[112:113], v[2:3]
	;; [unrolled: 1-line block ×5, first 2 shown]
	v_mul_f64_e32 v[189:190], s[18:19], v[98:99]
	v_mul_f64_e32 v[171:172], s[48:49], v[98:99]
	v_fma_f64 v[116:117], v[92:93], s[40:41], v[173:174]
	v_fma_f64 v[195:196], v[92:93], s[38:39], v[155:156]
	v_add_f64_e32 v[108:109], v[64:65], v[60:61]
	v_add_f64_e64 v[112:113], v[68:69], -v[72:73]
	v_mul_f64_e32 v[199:200], s[46:47], v[104:105]
	v_mul_f64_e32 v[181:182], s[42:43], v[104:105]
	v_fma_f64 v[210:211], v[102:103], s[22:23], v[183:184]
	v_fma_f64 v[214:215], v[102:103], s[40:41], v[165:166]
	v_add_f64_e32 v[0:1], v[128:129], v[0:1]
	v_add_f64_e32 v[2:3], v[132:133], v[2:3]
	;; [unrolled: 1-line block ×5, first 2 shown]
	v_add_f64_e64 v[132:133], v[70:71], -v[74:75]
	v_mul_f64_e32 v[179:180], s[42:43], v[124:125]
	v_fma_f64 v[212:213], v[122:123], s[22:23], -v[189:190]
	v_fma_f64 v[216:217], v[122:123], s[40:41], -v[171:172]
	v_add_f64_e32 v[134:135], v[70:71], v[74:75]
	v_mul_f64_e32 v[203:204], s[24:25], v[112:113]
	v_fma_f64 v[218:219], v[108:109], s[38:39], v[197:198]
	v_add_f64_e32 v[0:1], v[116:117], v[0:1]
	v_add_f64_e32 v[2:3], v[191:192], v[2:3]
	;; [unrolled: 1-line block ×5, first 2 shown]
	v_mul_f64_e32 v[201:202], s[24:25], v[132:133]
	v_mul_f64_e32 v[191:192], s[44:45], v[132:133]
	;; [unrolled: 1-line block ×3, first 2 shown]
	v_fma_f64 v[220:221], v[128:129], s[38:39], -v[199:200]
	v_fma_f64 v[222:223], v[108:109], s[28:29], v[179:180]
	v_fma_f64 v[224:225], v[128:129], s[28:29], -v[181:182]
	v_add_f64_e32 v[0:1], v[210:211], v[0:1]
	v_add_f64_e32 v[2:3], v[212:213], v[2:3]
	;; [unrolled: 1-line block ×4, first 2 shown]
	v_fma_f64 v[212:213], v[134:135], s[30:31], -v[203:204]
	v_fma_f64 v[210:211], v[116:117], s[30:31], v[201:202]
	v_fma_f64 v[214:215], v[116:117], s[6:7], v[191:192]
	v_fma_f64 v[216:217], v[134:135], s[6:7], -v[195:196]
	v_add_f64_e32 v[0:1], v[218:219], v[0:1]
	v_add_f64_e32 v[2:3], v[220:221], v[2:3]
	;; [unrolled: 1-line block ×4, first 2 shown]
	s_delay_alu instid0(VALU_DEP_4) | instskip(NEXT) | instid1(VALU_DEP_4)
	v_add_f64_e32 v[0:1], v[210:211], v[0:1]
	v_add_f64_e32 v[2:3], v[212:213], v[2:3]
	s_delay_alu instid0(VALU_DEP_4) | instskip(NEXT) | instid1(VALU_DEP_4)
	v_add_f64_e32 v[4:5], v[214:215], v[4:5]
	v_add_f64_e32 v[6:7], v[216:217], v[6:7]
	s_and_saveexec_b32 s33, vcc_lo
	s_cbranch_execz .LBB0_7
; %bb.6:
	v_add_f64_e32 v[28:29], v[8:9], v[28:29]
	v_add_f64_e32 v[30:31], v[10:11], v[30:31]
	s_mov_b32 s53, 0x3fe9895b
	s_mov_b32 s52, s18
	;; [unrolled: 1-line block ×8, first 2 shown]
	v_mul_f64_e32 v[212:213], s[16:17], v[134:135]
	v_mul_f64_e32 v[214:215], s[50:51], v[132:133]
	;; [unrolled: 1-line block ×4, first 2 shown]
	v_add_f64_e32 v[28:29], v[28:29], v[36:37]
	v_add_f64_e32 v[30:31], v[30:31], v[38:39]
	v_mul_f64_e32 v[36:37], s[28:29], v[167:168]
	s_delay_alu instid0(VALU_DEP_3) | instskip(NEXT) | instid1(VALU_DEP_3)
	v_add_f64_e32 v[28:29], v[28:29], v[40:41]
	v_add_f64_e32 v[30:31], v[30:31], v[42:43]
	v_mul_f64_e32 v[42:43], s[10:11], v[161:162]
	s_delay_alu instid0(VALU_DEP_4)
	v_fma_f64 v[38:39], v[169:170], s[42:43], v[36:37]
	v_fma_f64 v[36:37], v[169:170], s[26:27], v[36:37]
	v_mul_f64_e32 v[40:41], s[10:11], v[167:168]
	v_add_f64_e32 v[28:29], v[28:29], v[44:45]
	v_add_f64_e32 v[30:31], v[30:31], v[46:47]
	v_mul_f64_e32 v[46:47], s[24:25], v[163:164]
	v_add_f64_e64 v[42:43], v[42:43], -v[187:188]
	v_mul_f64_e32 v[44:45], s[6:7], v[167:168]
	v_add_f64_e32 v[40:41], v[193:194], v[40:41]
	v_add_f64_e32 v[36:37], v[10:11], v[36:37]
	;; [unrolled: 1-line block ×4, first 2 shown]
	v_mul_f64_e32 v[52:53], s[34:35], v[163:164]
	v_mul_f64_e32 v[54:55], s[20:21], v[163:164]
	v_add_f64_e32 v[44:45], v[185:186], v[44:45]
	v_add_f64_e32 v[185:186], v[10:11], v[38:39]
	;; [unrolled: 1-line block ×4, first 2 shown]
	v_mul_f64_e32 v[56:57], s[26:27], v[163:164]
	v_fma_f64 v[58:59], v[161:162], s[30:31], v[46:47]
	v_fma_f64 v[46:47], v[161:162], s[30:31], -v[46:47]
	v_add_f64_e32 v[28:29], v[28:29], v[64:65]
	v_add_f64_e32 v[30:31], v[30:31], v[66:67]
	v_fma_f64 v[64:65], v[161:162], s[40:41], v[52:53]
	v_fma_f64 v[52:53], v[161:162], s[40:41], -v[52:53]
	v_fma_f64 v[66:67], v[161:162], s[16:17], v[54:55]
	v_fma_f64 v[54:55], v[161:162], s[16:17], -v[54:55]
	v_add_f64_e32 v[58:59], v[8:9], v[58:59]
	v_add_f64_e32 v[46:47], v[8:9], v[46:47]
	;; [unrolled: 1-line block ×4, first 2 shown]
	v_mul_f64_e32 v[70:71], s[6:7], v[161:162]
	v_fma_f64 v[68:69], v[161:162], s[28:29], v[56:57]
	v_fma_f64 v[56:57], v[161:162], s[28:29], -v[56:57]
	v_add_f64_e32 v[64:65], v[8:9], v[64:65]
	v_add_f64_e32 v[52:53], v[8:9], v[52:53]
	;; [unrolled: 1-line block ×6, first 2 shown]
	v_add_f64_e64 v[70:71], v[70:71], -v[177:178]
	v_add_f64_e32 v[68:69], v[8:9], v[68:69]
	v_add_f64_e32 v[38:39], v[8:9], v[56:57]
	;; [unrolled: 1-line block ×4, first 2 shown]
	s_delay_alu instid0(VALU_DEP_2) | instskip(NEXT) | instid1(VALU_DEP_2)
	v_add_f64_e32 v[28:29], v[28:29], v[48:49]
	v_add_f64_e32 v[30:31], v[30:31], v[50:51]
	v_mul_f64_e32 v[48:49], s[46:47], v[163:164]
	v_mul_f64_e32 v[50:51], s[18:19], v[163:164]
	s_delay_alu instid0(VALU_DEP_4) | instskip(NEXT) | instid1(VALU_DEP_4)
	v_add_f64_e32 v[28:29], v[28:29], v[32:33]
	v_add_f64_e32 v[30:31], v[30:31], v[34:35]
	v_mul_f64_e32 v[32:33], s[16:17], v[167:168]
	v_fma_f64 v[60:61], v[161:162], s[38:39], v[48:49]
	v_fma_f64 v[48:49], v[161:162], s[38:39], -v[48:49]
	v_fma_f64 v[62:63], v[161:162], s[22:23], v[50:51]
	v_fma_f64 v[50:51], v[161:162], s[22:23], -v[50:51]
	v_add_f64_e32 v[24:25], v[28:29], v[24:25]
	v_add_f64_e32 v[26:27], v[30:31], v[26:27]
	v_mul_f64_e32 v[28:29], s[40:41], v[167:168]
	v_fma_f64 v[34:35], v[169:170], s[50:51], v[32:33]
	v_fma_f64 v[32:33], v[169:170], s[20:21], v[32:33]
	v_add_f64_e32 v[60:61], v[8:9], v[60:61]
	v_add_f64_e32 v[48:49], v[8:9], v[48:49]
	;; [unrolled: 1-line block ×6, first 2 shown]
	v_mul_f64_e32 v[24:25], s[22:23], v[167:168]
	v_fma_f64 v[30:31], v[169:170], s[48:49], v[28:29]
	v_fma_f64 v[28:29], v[169:170], s[34:35], v[28:29]
	v_add_f64_e32 v[177:178], v[10:11], v[32:33]
	v_add_f64_e32 v[32:33], v[10:11], v[40:41]
	;; [unrolled: 1-line block ×3, first 2 shown]
	v_mul_f64_e32 v[20:21], s[38:39], v[167:168]
	v_add_f64_e32 v[18:19], v[22:23], v[18:19]
	v_fma_f64 v[26:27], v[169:170], s[52:53], v[24:25]
	v_fma_f64 v[24:25], v[169:170], s[18:19], v[24:25]
	v_add_f64_e32 v[163:164], v[10:11], v[30:31]
	v_add_f64_e32 v[30:31], v[8:9], v[70:71]
	;; [unrolled: 1-line block ×3, first 2 shown]
	v_mul_f64_e32 v[16:17], s[30:31], v[167:168]
	v_fma_f64 v[22:23], v[169:170], s[36:37], v[20:21]
	v_fma_f64 v[20:21], v[169:170], s[46:47], v[20:21]
	v_add_f64_e32 v[14:15], v[18:19], v[14:15]
	v_add_f64_e32 v[161:162], v[10:11], v[24:25]
	v_mul_f64_e32 v[24:25], s[38:39], v[100:101]
	v_add_f64_e32 v[74:75], v[10:11], v[26:27]
	v_add_f64_e32 v[167:168], v[10:11], v[28:29]
	v_add_f64_e32 v[28:29], v[10:11], v[44:45]
	v_fma_f64 v[18:19], v[169:170], s[54:55], v[16:17]
	v_fma_f64 v[16:17], v[169:170], s[24:25], v[16:17]
	v_add_f64_e32 v[72:73], v[10:11], v[20:21]
	v_mul_f64_e32 v[20:21], s[6:7], v[94:95]
	v_add_f64_e32 v[169:170], v[10:11], v[34:35]
	v_add_f64_e32 v[34:35], v[8:9], v[42:43]
	v_fma_f64 v[26:27], v[80:81], s[36:37], v[24:25]
	v_add_f64_e32 v[22:23], v[10:11], v[22:23]
	v_add_f64_e32 v[18:19], v[10:11], v[18:19]
	;; [unrolled: 1-line block ×3, first 2 shown]
	v_fma_f64 v[8:9], v[76:77], s[0:1], v[20:21]
	v_fma_f64 v[20:21], v[76:77], s[44:45], v[20:21]
	s_delay_alu instid0(VALU_DEP_2) | instskip(SKIP_1) | instid1(VALU_DEP_3)
	v_add_f64_e32 v[8:9], v[8:9], v[18:19]
	v_mul_f64_e32 v[18:19], s[44:45], v[90:91]
	v_add_f64_e32 v[16:17], v[20:21], v[16:17]
	v_fma_f64 v[20:21], v[80:81], s[46:47], v[24:25]
	v_fma_f64 v[24:25], v[116:117], s[16:17], -v[214:215]
	v_add_f64_e32 v[8:9], v[26:27], v[8:9]
	v_fma_f64 v[10:11], v[78:79], s[6:7], v[18:19]
	v_mul_f64_e32 v[26:27], s[46:47], v[96:97]
	v_fma_f64 v[18:19], v[78:79], s[6:7], -v[18:19]
	v_add_f64_e32 v[16:17], v[20:21], v[16:17]
	s_delay_alu instid0(VALU_DEP_4) | instskip(NEXT) | instid1(VALU_DEP_4)
	v_add_f64_e32 v[10:11], v[10:11], v[58:59]
	v_fma_f64 v[40:41], v[82:83], s[38:39], v[26:27]
	s_delay_alu instid0(VALU_DEP_4) | instskip(SKIP_2) | instid1(VALU_DEP_4)
	v_add_f64_e32 v[18:19], v[18:19], v[46:47]
	v_fma_f64 v[20:21], v[82:83], s[38:39], -v[26:27]
	v_mul_f64_e32 v[26:27], s[42:43], v[90:91]
	v_add_f64_e32 v[10:11], v[40:41], v[10:11]
	v_mul_f64_e32 v[40:41], s[10:11], v[110:111]
	s_delay_alu instid0(VALU_DEP_4) | instskip(NEXT) | instid1(VALU_DEP_2)
	v_add_f64_e32 v[18:19], v[20:21], v[18:19]
	v_fma_f64 v[42:43], v[84:85], s[8:9], v[40:41]
	v_fma_f64 v[20:21], v[84:85], s[56:57], v[40:41]
	v_mul_f64_e32 v[40:41], s[16:17], v[100:101]
	s_delay_alu instid0(VALU_DEP_3) | instskip(SKIP_1) | instid1(VALU_DEP_4)
	v_add_f64_e32 v[8:9], v[42:43], v[8:9]
	v_mul_f64_e32 v[42:43], s[56:57], v[106:107]
	v_add_f64_e32 v[16:17], v[20:21], v[16:17]
	s_delay_alu instid0(VALU_DEP_2) | instskip(SKIP_3) | instid1(VALU_DEP_4)
	v_fma_f64 v[44:45], v[86:87], s[10:11], v[42:43]
	v_fma_f64 v[20:21], v[86:87], s[10:11], -v[42:43]
	v_fma_f64 v[42:43], v[80:81], s[50:51], v[40:41]
	v_fma_f64 v[40:41], v[80:81], s[20:21], v[40:41]
	v_add_f64_e32 v[10:11], v[44:45], v[10:11]
	v_mul_f64_e32 v[44:45], s[22:23], v[118:119]
	v_add_f64_e32 v[18:19], v[20:21], v[18:19]
	s_delay_alu instid0(VALU_DEP_2) | instskip(SKIP_1) | instid1(VALU_DEP_2)
	v_fma_f64 v[56:57], v[88:89], s[52:53], v[44:45]
	v_fma_f64 v[20:21], v[88:89], s[18:19], v[44:45]
	v_add_f64_e32 v[8:9], v[56:57], v[8:9]
	v_mul_f64_e32 v[56:57], s[18:19], v[114:115]
	s_delay_alu instid0(VALU_DEP_3) | instskip(NEXT) | instid1(VALU_DEP_2)
	v_add_f64_e32 v[16:17], v[20:21], v[16:17]
	v_fma_f64 v[58:59], v[92:93], s[22:23], v[56:57]
	v_fma_f64 v[20:21], v[92:93], s[22:23], -v[56:57]
	s_delay_alu instid0(VALU_DEP_2) | instskip(SKIP_1) | instid1(VALU_DEP_3)
	v_add_f64_e32 v[10:11], v[58:59], v[10:11]
	v_mul_f64_e32 v[58:59], s[28:29], v[122:123]
	v_add_f64_e32 v[18:19], v[20:21], v[18:19]
	s_delay_alu instid0(VALU_DEP_2) | instskip(SKIP_1) | instid1(VALU_DEP_2)
	v_fma_f64 v[70:71], v[98:99], s[26:27], v[58:59]
	v_fma_f64 v[20:21], v[98:99], s[42:43], v[58:59]
	v_add_f64_e32 v[8:9], v[70:71], v[8:9]
	v_mul_f64_e32 v[70:71], s[42:43], v[120:121]
	s_delay_alu instid0(VALU_DEP_3) | instskip(NEXT) | instid1(VALU_DEP_2)
	v_add_f64_e32 v[16:17], v[20:21], v[16:17]
	v_fma_f64 v[187:188], v[102:103], s[28:29], v[70:71]
	v_fma_f64 v[20:21], v[102:103], s[28:29], -v[70:71]
	s_delay_alu instid0(VALU_DEP_2) | instskip(SKIP_1) | instid1(VALU_DEP_3)
	v_add_f64_e32 v[10:11], v[187:188], v[10:11]
	v_mul_f64_e32 v[187:188], s[40:41], v[128:129]
	v_add_f64_e32 v[18:19], v[20:21], v[18:19]
	s_delay_alu instid0(VALU_DEP_2) | instskip(SKIP_1) | instid1(VALU_DEP_2)
	v_fma_f64 v[193:194], v[104:105], s[48:49], v[187:188]
	v_fma_f64 v[20:21], v[104:105], s[34:35], v[187:188]
	v_add_f64_e32 v[8:9], v[193:194], v[8:9]
	v_mul_f64_e32 v[193:194], s[34:35], v[124:125]
	s_delay_alu instid0(VALU_DEP_3) | instskip(NEXT) | instid1(VALU_DEP_2)
	v_add_f64_e32 v[16:17], v[20:21], v[16:17]
	v_fma_f64 v[20:21], v[108:109], s[40:41], -v[193:194]
	v_fma_f64 v[210:211], v[108:109], s[40:41], v[193:194]
	s_delay_alu instid0(VALU_DEP_2) | instskip(SKIP_1) | instid1(VALU_DEP_3)
	v_add_f64_e32 v[20:21], v[20:21], v[18:19]
	v_fma_f64 v[18:19], v[112:113], s[50:51], v[212:213]
	v_add_f64_e32 v[210:211], v[210:211], v[10:11]
	v_fma_f64 v[10:11], v[112:113], s[20:21], v[212:213]
	v_mul_f64_e32 v[212:213], s[40:41], v[134:135]
	s_delay_alu instid0(VALU_DEP_4)
	v_add_f64_e32 v[18:19], v[18:19], v[16:17]
	v_add_f64_e32 v[16:17], v[24:25], v[20:21]
	v_mul_f64_e32 v[24:25], s[28:29], v[94:95]
	v_add_f64_e32 v[10:11], v[10:11], v[8:9]
	v_fma_f64 v[8:9], v[116:117], s[16:17], v[214:215]
	v_mul_f64_e32 v[214:215], s[34:35], v[132:133]
	s_delay_alu instid0(VALU_DEP_4) | instskip(SKIP_1) | instid1(VALU_DEP_4)
	v_fma_f64 v[20:21], v[76:77], s[26:27], v[24:25]
	v_fma_f64 v[24:25], v[76:77], s[42:43], v[24:25]
	v_add_f64_e32 v[8:9], v[8:9], v[210:211]
	s_delay_alu instid0(VALU_DEP_3) | instskip(SKIP_1) | instid1(VALU_DEP_4)
	v_add_f64_e32 v[20:21], v[20:21], v[22:23]
	v_fma_f64 v[22:23], v[78:79], s[28:29], v[26:27]
	v_add_f64_e32 v[24:25], v[24:25], v[72:73]
	v_fma_f64 v[26:27], v[78:79], s[28:29], -v[26:27]
	v_mul_f64_e32 v[72:73], s[18:19], v[90:91]
	v_add_f64_e32 v[20:21], v[42:43], v[20:21]
	v_mul_f64_e32 v[42:43], s[20:21], v[96:97]
	v_add_f64_e32 v[22:23], v[22:23], v[60:61]
	v_add_f64_e32 v[26:27], v[26:27], v[48:49]
	v_add_f64_e32 v[24:25], v[40:41], v[24:25]
	v_mul_f64_e32 v[48:49], s[28:29], v[82:83]
	v_fma_f64 v[44:45], v[82:83], s[16:17], v[42:43]
	v_fma_f64 v[40:41], v[82:83], s[16:17], -v[42:43]
	v_fma_f64 v[42:43], v[116:117], s[40:41], -v[214:215]
	s_delay_alu instid0(VALU_DEP_4) | instskip(SKIP_4) | instid1(VALU_DEP_2)
	v_add_f64_e64 v[48:49], v[48:49], -v[144:145]
	v_mul_f64_e32 v[144:145], s[6:7], v[122:123]
	v_add_f64_e32 v[22:23], v[44:45], v[22:23]
	v_mul_f64_e32 v[44:45], s[22:23], v[110:111]
	v_add_f64_e32 v[26:27], v[40:41], v[26:27]
	v_fma_f64 v[46:47], v[84:85], s[18:19], v[44:45]
	v_fma_f64 v[40:41], v[84:85], s[52:53], v[44:45]
	v_mul_f64_e32 v[44:45], s[10:11], v[94:95]
	s_delay_alu instid0(VALU_DEP_3) | instskip(SKIP_1) | instid1(VALU_DEP_4)
	v_add_f64_e32 v[20:21], v[46:47], v[20:21]
	v_mul_f64_e32 v[46:47], s[52:53], v[106:107]
	v_add_f64_e32 v[24:25], v[40:41], v[24:25]
	s_delay_alu instid0(VALU_DEP_4) | instskip(SKIP_1) | instid1(VALU_DEP_4)
	v_add_f64_e32 v[44:45], v[138:139], v[44:45]
	v_mul_f64_e32 v[138:139], s[48:49], v[106:107]
	v_fma_f64 v[56:57], v[86:87], s[22:23], v[46:47]
	v_fma_f64 v[40:41], v[86:87], s[22:23], -v[46:47]
	v_mul_f64_e32 v[46:47], s[16:17], v[86:87]
	v_add_f64_e32 v[28:29], v[44:45], v[28:29]
	v_mul_f64_e32 v[44:45], s[22:23], v[102:103]
	v_add_f64_e32 v[22:23], v[56:57], v[22:23]
	;; [unrolled: 2-line block ×3, first 2 shown]
	v_add_f64_e64 v[46:47], v[46:47], -v[153:154]
	v_add_f64_e64 v[44:45], v[44:45], -v[183:184]
	v_mul_f64_e32 v[153:154], s[38:39], v[134:135]
	v_mul_f64_e32 v[183:184], s[22:23], v[128:129]
	v_fma_f64 v[58:59], v[88:89], s[44:45], v[56:57]
	v_fma_f64 v[40:41], v[88:89], s[0:1], v[56:57]
	v_mul_f64_e32 v[56:57], s[10:11], v[78:79]
	s_delay_alu instid0(VALU_DEP_3) | instskip(SKIP_1) | instid1(VALU_DEP_4)
	v_add_f64_e32 v[20:21], v[58:59], v[20:21]
	v_mul_f64_e32 v[58:59], s[0:1], v[114:115]
	v_add_f64_e32 v[24:25], v[40:41], v[24:25]
	s_delay_alu instid0(VALU_DEP_4) | instskip(SKIP_1) | instid1(VALU_DEP_4)
	v_add_f64_e64 v[56:57], v[56:57], -v[136:137]
	v_mul_f64_e32 v[136:137], s[40:41], v[110:111]
	v_fma_f64 v[60:61], v[92:93], s[6:7], v[58:59]
	v_fma_f64 v[40:41], v[92:93], s[6:7], -v[58:59]
	s_delay_alu instid0(VALU_DEP_4)
	v_add_f64_e32 v[30:31], v[56:57], v[30:31]
	v_mul_f64_e32 v[58:59], s[40:41], v[118:119]
	v_mul_f64_e32 v[56:57], s[16:17], v[78:79]
	v_add_f64_e32 v[22:23], v[60:61], v[22:23]
	v_mul_f64_e32 v[60:61], s[30:31], v[122:123]
	v_add_f64_e32 v[26:27], v[40:41], v[26:27]
	v_add_f64_e32 v[30:31], v[48:49], v[30:31]
	v_add_f64_e32 v[58:59], v[175:176], v[58:59]
	v_mul_f64_e32 v[48:49], s[22:23], v[82:83]
	v_add_f64_e64 v[56:57], v[56:57], -v[126:127]
	v_mul_f64_e32 v[126:127], s[30:31], v[100:101]
	v_mul_f64_e32 v[175:176], s[28:29], v[118:119]
	v_fma_f64 v[70:71], v[98:99], s[54:55], v[60:61]
	v_fma_f64 v[40:41], v[98:99], s[24:25], v[60:61]
	v_mul_f64_e32 v[60:61], s[40:41], v[92:93]
	v_add_f64_e32 v[30:31], v[46:47], v[30:31]
	v_mul_f64_e32 v[46:47], s[30:31], v[134:135]
	v_add_f64_e64 v[48:49], v[48:49], -v[140:141]
	v_add_f64_e32 v[34:35], v[56:57], v[34:35]
	v_mul_f64_e32 v[140:141], s[10:11], v[118:119]
	v_mul_f64_e32 v[56:57], s[38:39], v[94:95]
	v_add_f64_e32 v[20:21], v[70:71], v[20:21]
	v_mul_f64_e32 v[70:71], s[24:25], v[120:121]
	v_add_f64_e32 v[24:25], v[40:41], v[24:25]
	v_add_f64_e64 v[60:61], v[60:61], -v[173:174]
	v_add_f64_e32 v[46:47], v[203:204], v[46:47]
	v_mul_f64_e32 v[173:174], s[44:45], v[106:107]
	v_add_f64_e32 v[34:35], v[48:49], v[34:35]
	v_mul_f64_e32 v[203:204], s[16:17], v[122:123]
	v_fma_f64 v[187:188], v[102:103], s[30:31], v[70:71]
	v_fma_f64 v[40:41], v[102:103], s[30:31], -v[70:71]
	v_mul_f64_e32 v[70:71], s[22:23], v[122:123]
	v_add_f64_e32 v[30:31], v[60:61], v[30:31]
	v_mul_f64_e32 v[60:61], s[38:39], v[92:93]
	v_add_f64_e32 v[22:23], v[187:188], v[22:23]
	;; [unrolled: 2-line block ×3, first 2 shown]
	v_add_f64_e32 v[70:71], v[189:190], v[70:71]
	v_add_f64_e32 v[30:31], v[44:45], v[30:31]
	v_mul_f64_e32 v[44:45], s[30:31], v[116:117]
	v_add_f64_e64 v[60:61], v[60:61], -v[155:156]
	v_mul_f64_e32 v[155:156], s[46:47], v[132:133]
	v_mul_f64_e32 v[189:190], s[10:11], v[134:135]
	v_fma_f64 v[193:194], v[104:105], s[8:9], v[187:188]
	v_fma_f64 v[40:41], v[104:105], s[56:57], v[187:188]
	v_mul_f64_e32 v[187:188], s[52:53], v[124:125]
	v_add_f64_e64 v[44:45], v[44:45], -v[201:202]
	v_mul_f64_e32 v[201:202], s[24:25], v[114:115]
	v_add_f64_e32 v[20:21], v[193:194], v[20:21]
	v_mul_f64_e32 v[193:194], s[56:57], v[124:125]
	v_add_f64_e32 v[24:25], v[40:41], v[24:25]
	s_delay_alu instid0(VALU_DEP_2) | instskip(SKIP_2) | instid1(VALU_DEP_3)
	v_fma_f64 v[40:41], v[108:109], s[10:11], -v[193:194]
	v_fma_f64 v[210:211], v[108:109], s[10:11], v[193:194]
	v_mul_f64_e32 v[193:194], s[56:57], v[96:97]
	v_add_f64_e32 v[40:41], v[40:41], v[26:27]
	v_fma_f64 v[26:27], v[112:113], s[34:35], v[212:213]
	s_delay_alu instid0(VALU_DEP_4) | instskip(SKIP_2) | instid1(VALU_DEP_4)
	v_add_f64_e32 v[210:211], v[210:211], v[22:23]
	v_fma_f64 v[22:23], v[112:113], s[48:49], v[212:213]
	v_mul_f64_e32 v[212:213], s[6:7], v[128:129]
	v_add_f64_e32 v[26:27], v[26:27], v[24:25]
	v_add_f64_e32 v[24:25], v[42:43], v[40:41]
	v_mul_f64_e32 v[42:43], s[28:29], v[100:101]
	v_mul_f64_e32 v[40:41], s[16:17], v[110:111]
	v_add_f64_e32 v[22:23], v[22:23], v[20:21]
	v_fma_f64 v[20:21], v[116:117], s[40:41], v[214:215]
	v_mul_f64_e32 v[214:215], s[0:1], v[124:125]
	v_add_f64_e32 v[42:43], v[148:149], v[42:43]
	v_add_f64_e32 v[40:41], v[159:160], v[40:41]
	v_mul_f64_e32 v[148:149], s[16:17], v[128:129]
	v_mul_f64_e32 v[159:160], s[40:41], v[100:101]
	v_add_f64_e32 v[20:21], v[20:21], v[210:211]
	v_mul_f64_e32 v[210:211], s[50:51], v[120:121]
	v_add_f64_e32 v[28:29], v[42:43], v[28:29]
	v_mul_f64_e32 v[42:43], s[38:39], v[128:129]
	s_delay_alu instid0(VALU_DEP_2) | instskip(SKIP_1) | instid1(VALU_DEP_3)
	v_add_f64_e32 v[28:29], v[40:41], v[28:29]
	v_mul_f64_e32 v[40:41], s[38:39], v[108:109]
	v_add_f64_e32 v[42:43], v[199:200], v[42:43]
	v_mul_f64_e32 v[199:200], s[30:31], v[118:119]
	s_delay_alu instid0(VALU_DEP_4) | instskip(NEXT) | instid1(VALU_DEP_4)
	v_add_f64_e32 v[28:29], v[58:59], v[28:29]
	v_add_f64_e64 v[40:41], v[40:41], -v[197:198]
	v_mul_f64_e32 v[58:59], s[38:39], v[118:119]
	v_mul_f64_e32 v[197:198], s[26:27], v[106:107]
	s_delay_alu instid0(VALU_DEP_4) | instskip(NEXT) | instid1(VALU_DEP_4)
	v_add_f64_e32 v[28:29], v[70:71], v[28:29]
	v_add_f64_e32 v[40:41], v[40:41], v[30:31]
	s_delay_alu instid0(VALU_DEP_4) | instskip(SKIP_4) | instid1(VALU_DEP_4)
	v_add_f64_e32 v[58:59], v[157:158], v[58:59]
	v_mul_f64_e32 v[70:71], s[40:41], v[122:123]
	v_mul_f64_e32 v[157:158], s[24:25], v[90:91]
	v_add_f64_e32 v[28:29], v[42:43], v[28:29]
	v_mul_f64_e32 v[42:43], s[22:23], v[100:101]
	v_add_f64_e32 v[70:71], v[171:172], v[70:71]
	v_mul_f64_e32 v[171:172], s[6:7], v[110:111]
	s_delay_alu instid0(VALU_DEP_4)
	v_add_f64_e32 v[30:31], v[46:47], v[28:29]
	v_add_f64_e32 v[28:29], v[44:45], v[40:41]
	v_mul_f64_e32 v[44:45], s[16:17], v[94:95]
	v_mul_f64_e32 v[40:41], s[30:31], v[110:111]
	v_add_f64_e32 v[42:43], v[142:143], v[42:43]
	v_mul_f64_e32 v[46:47], s[30:31], v[86:87]
	v_mul_f64_e32 v[142:143], s[56:57], v[114:115]
	v_add_f64_e32 v[44:45], v[130:131], v[44:45]
	v_add_f64_e32 v[40:41], v[150:151], v[40:41]
	v_mul_f64_e32 v[130:131], s[54:55], v[96:97]
	v_add_f64_e64 v[46:47], v[46:47], -v[146:147]
	v_mul_f64_e32 v[146:147], s[0:1], v[120:121]
	v_mul_f64_e32 v[150:151], s[20:21], v[124:125]
	v_add_f64_e32 v[32:33], v[44:45], v[32:33]
	v_mul_f64_e32 v[44:45], s[40:41], v[102:103]
	v_add_f64_e32 v[34:35], v[46:47], v[34:35]
	v_mul_f64_e32 v[46:47], s[6:7], v[134:135]
	s_delay_alu instid0(VALU_DEP_4) | instskip(NEXT) | instid1(VALU_DEP_4)
	v_add_f64_e32 v[32:33], v[42:43], v[32:33]
	v_add_f64_e64 v[44:45], v[44:45], -v[165:166]
	v_mul_f64_e32 v[42:43], s[28:29], v[128:129]
	v_add_f64_e32 v[34:35], v[60:61], v[34:35]
	v_add_f64_e32 v[46:47], v[195:196], v[46:47]
	v_mul_f64_e32 v[60:61], s[30:31], v[94:95]
	v_mul_f64_e32 v[165:166], s[48:49], v[96:97]
	;; [unrolled: 1-line block ×3, first 2 shown]
	v_add_f64_e32 v[32:33], v[40:41], v[32:33]
	v_mul_f64_e32 v[40:41], s[28:29], v[108:109]
	v_add_f64_e32 v[42:43], v[181:182], v[42:43]
	v_add_f64_e32 v[34:35], v[44:45], v[34:35]
	v_mul_f64_e32 v[44:45], s[6:7], v[116:117]
	v_mul_f64_e32 v[181:182], s[46:47], v[120:121]
	v_add_f64_e32 v[32:33], v[58:59], v[32:33]
	v_add_f64_e64 v[40:41], v[40:41], -v[179:180]
	v_mul_f64_e32 v[179:180], s[38:39], v[122:123]
	v_mul_f64_e32 v[58:59], s[36:37], v[90:91]
	v_add_f64_e64 v[44:45], v[44:45], -v[191:192]
	v_mul_f64_e32 v[191:192], s[56:57], v[132:133]
	v_mul_f64_e32 v[132:133], s[42:43], v[132:133]
	v_add_f64_e32 v[32:33], v[70:71], v[32:33]
	v_add_f64_e32 v[40:41], v[40:41], v[34:35]
	v_mul_f64_e32 v[70:71], s[22:23], v[94:95]
	s_delay_alu instid0(VALU_DEP_3) | instskip(SKIP_1) | instid1(VALU_DEP_2)
	v_add_f64_e32 v[32:33], v[42:43], v[32:33]
	v_fma_f64 v[42:43], v[78:79], s[30:31], -v[157:158]
	v_add_f64_e32 v[34:35], v[46:47], v[32:33]
	v_add_f64_e32 v[32:33], v[44:45], v[40:41]
	v_fma_f64 v[40:41], v[76:77], s[18:19], v[70:71]
	v_fma_f64 v[44:45], v[80:81], s[48:49], v[159:160]
	v_add_f64_e32 v[42:43], v[42:43], v[54:55]
	v_fma_f64 v[46:47], v[78:79], s[38:39], -v[58:59]
	v_mul_f64_e32 v[54:55], s[48:49], v[90:91]
	v_fma_f64 v[58:59], v[78:79], s[38:39], v[58:59]
	v_add_f64_e32 v[36:37], v[40:41], v[36:37]
	v_fma_f64 v[40:41], v[78:79], s[22:23], -v[72:73]
	v_add_f64_e32 v[46:47], v[46:47], v[52:53]
	v_mul_f64_e32 v[52:53], s[40:41], v[94:95]
	v_fma_f64 v[90:91], v[78:79], s[40:41], -v[54:55]
	v_fma_f64 v[54:55], v[78:79], s[40:41], v[54:55]
	v_add_f64_e32 v[58:59], v[58:59], v[64:65]
	v_fma_f64 v[64:65], v[116:117], s[22:23], v[218:219]
	v_add_f64_e32 v[38:39], v[40:41], v[38:39]
	;; [unrolled: 2-line block ×3, first 2 shown]
	v_mul_f64_e32 v[90:91], s[6:7], v[100:101]
	v_add_f64_e32 v[54:55], v[54:55], v[62:63]
	s_delay_alu instid0(VALU_DEP_4) | instskip(SKIP_1) | instid1(VALU_DEP_4)
	v_add_f64_e32 v[36:37], v[40:41], v[36:37]
	v_fma_f64 v[40:41], v[82:83], s[30:31], -v[130:131]
	v_fma_f64 v[94:95], v[80:81], s[0:1], v[90:91]
	v_fma_f64 v[62:63], v[80:81], s[44:45], v[90:91]
	s_delay_alu instid0(VALU_DEP_3) | instskip(SKIP_1) | instid1(VALU_DEP_1)
	v_add_f64_e32 v[38:39], v[40:41], v[38:39]
	v_fma_f64 v[40:41], v[84:85], s[48:49], v[136:137]
	v_add_f64_e32 v[36:37], v[40:41], v[36:37]
	v_fma_f64 v[40:41], v[86:87], s[40:41], -v[138:139]
	s_delay_alu instid0(VALU_DEP_1) | instskip(SKIP_1) | instid1(VALU_DEP_1)
	v_add_f64_e32 v[38:39], v[40:41], v[38:39]
	v_fma_f64 v[40:41], v[88:89], s[56:57], v[140:141]
	v_add_f64_e32 v[36:37], v[40:41], v[36:37]
	v_fma_f64 v[40:41], v[92:93], s[10:11], -v[142:143]
	s_delay_alu instid0(VALU_DEP_1) | instskip(SKIP_1) | instid1(VALU_DEP_1)
	;; [unrolled: 5-line block ×4, first 2 shown]
	v_add_f64_e32 v[40:41], v[40:41], v[38:39]
	v_fma_f64 v[38:39], v[112:113], s[46:47], v[153:154]
	v_add_f64_e32 v[38:39], v[38:39], v[36:37]
	v_fma_f64 v[36:37], v[116:117], s[38:39], -v[155:156]
	s_delay_alu instid0(VALU_DEP_1) | instskip(SKIP_2) | instid1(VALU_DEP_2)
	v_add_f64_e32 v[36:37], v[36:37], v[40:41]
	v_fma_f64 v[40:41], v[76:77], s[24:25], v[60:61]
	v_fma_f64 v[60:61], v[76:77], s[54:55], v[60:61]
	v_add_f64_e32 v[40:41], v[40:41], v[177:178]
	v_mul_f64_e32 v[177:178], s[26:27], v[114:115]
	s_delay_alu instid0(VALU_DEP_3) | instskip(NEXT) | instid1(VALU_DEP_3)
	v_add_f64_e32 v[60:61], v[60:61], v[169:170]
	v_add_f64_e32 v[40:41], v[44:45], v[40:41]
	v_fma_f64 v[44:45], v[82:83], s[40:41], -v[165:166]
	s_delay_alu instid0(VALU_DEP_1) | instskip(SKIP_1) | instid1(VALU_DEP_1)
	v_add_f64_e32 v[42:43], v[44:45], v[42:43]
	v_fma_f64 v[44:45], v[84:85], s[44:45], v[171:172]
	v_add_f64_e32 v[40:41], v[44:45], v[40:41]
	v_fma_f64 v[44:45], v[86:87], s[6:7], -v[173:174]
	s_delay_alu instid0(VALU_DEP_1) | instskip(SKIP_1) | instid1(VALU_DEP_1)
	v_add_f64_e32 v[42:43], v[44:45], v[42:43]
	v_fma_f64 v[44:45], v[88:89], s[26:27], v[175:176]
	;; [unrolled: 5-line block ×5, first 2 shown]
	v_add_f64_e32 v[42:43], v[42:43], v[40:41]
	v_fma_f64 v[40:41], v[116:117], s[10:11], -v[191:192]
	s_delay_alu instid0(VALU_DEP_1) | instskip(SKIP_2) | instid1(VALU_DEP_2)
	v_add_f64_e32 v[40:41], v[40:41], v[44:45]
	v_fma_f64 v[44:45], v[76:77], s[36:37], v[56:57]
	v_fma_f64 v[56:57], v[76:77], s[46:47], v[56:57]
	v_add_f64_e32 v[44:45], v[44:45], v[167:168]
	v_mul_f64_e32 v[167:168], s[10:11], v[100:101]
	s_delay_alu instid0(VALU_DEP_3) | instskip(NEXT) | instid1(VALU_DEP_2)
	v_add_f64_e32 v[56:57], v[56:57], v[163:164]
	v_fma_f64 v[48:49], v[80:81], s[56:57], v[167:168]
	s_delay_alu instid0(VALU_DEP_1) | instskip(SKIP_1) | instid1(VALU_DEP_1)
	v_add_f64_e32 v[44:45], v[48:49], v[44:45]
	v_fma_f64 v[48:49], v[82:83], s[10:11], -v[193:194]
	v_add_f64_e32 v[46:47], v[48:49], v[46:47]
	v_fma_f64 v[48:49], v[84:85], s[26:27], v[195:196]
	s_delay_alu instid0(VALU_DEP_1) | instskip(SKIP_1) | instid1(VALU_DEP_1)
	v_add_f64_e32 v[44:45], v[48:49], v[44:45]
	v_fma_f64 v[48:49], v[86:87], s[28:29], -v[197:198]
	;; [unrolled: 5-line block ×6, first 2 shown]
	v_add_f64_e32 v[44:45], v[44:45], v[48:49]
	v_fma_f64 v[48:49], v[76:77], s[48:49], v[52:53]
	v_fma_f64 v[52:53], v[76:77], s[34:35], v[52:53]
	s_delay_alu instid0(VALU_DEP_2) | instskip(NEXT) | instid1(VALU_DEP_2)
	v_add_f64_e32 v[48:49], v[48:49], v[161:162]
	v_add_f64_e32 v[52:53], v[52:53], v[74:75]
	v_fma_f64 v[74:75], v[116:117], s[28:29], v[132:133]
	s_delay_alu instid0(VALU_DEP_3) | instskip(SKIP_1) | instid1(VALU_DEP_4)
	v_add_f64_e32 v[48:49], v[94:95], v[48:49]
	v_mul_f64_e32 v[94:95], s[0:1], v[96:97]
	v_add_f64_e32 v[52:53], v[62:63], v[52:53]
	s_delay_alu instid0(VALU_DEP_2) | instskip(SKIP_1) | instid1(VALU_DEP_2)
	v_fma_f64 v[96:97], v[82:83], s[6:7], -v[94:95]
	v_fma_f64 v[62:63], v[82:83], s[6:7], v[94:95]
	v_add_f64_e32 v[50:51], v[96:97], v[50:51]
	v_mul_f64_e32 v[96:97], s[38:39], v[110:111]
	s_delay_alu instid0(VALU_DEP_3) | instskip(NEXT) | instid1(VALU_DEP_2)
	v_add_f64_e32 v[54:55], v[62:63], v[54:55]
	v_fma_f64 v[100:101], v[84:85], s[46:47], v[96:97]
	v_fma_f64 v[62:63], v[84:85], s[36:37], v[96:97]
	s_delay_alu instid0(VALU_DEP_2) | instskip(SKIP_1) | instid1(VALU_DEP_3)
	v_add_f64_e32 v[48:49], v[100:101], v[48:49]
	v_mul_f64_e32 v[100:101], s[46:47], v[106:107]
	v_add_f64_e32 v[52:53], v[62:63], v[52:53]
	s_delay_alu instid0(VALU_DEP_2) | instskip(SKIP_1) | instid1(VALU_DEP_2)
	v_fma_f64 v[106:107], v[86:87], s[38:39], -v[100:101]
	v_fma_f64 v[62:63], v[86:87], s[38:39], v[100:101]
	v_add_f64_e32 v[50:51], v[106:107], v[50:51]
	v_mul_f64_e32 v[106:107], s[16:17], v[118:119]
	s_delay_alu instid0(VALU_DEP_3) | instskip(NEXT) | instid1(VALU_DEP_2)
	v_add_f64_e32 v[54:55], v[62:63], v[54:55]
	v_fma_f64 v[110:111], v[88:89], s[50:51], v[106:107]
	v_fma_f64 v[62:63], v[88:89], s[20:21], v[106:107]
	s_delay_alu instid0(VALU_DEP_2) | instskip(SKIP_1) | instid1(VALU_DEP_3)
	;; [unrolled: 13-line block ×3, first 2 shown]
	v_add_f64_e32 v[48:49], v[118:119], v[48:49]
	v_mul_f64_e32 v[118:119], s[8:9], v[120:121]
	v_add_f64_e32 v[52:53], v[62:63], v[52:53]
	s_delay_alu instid0(VALU_DEP_2) | instskip(SKIP_1) | instid1(VALU_DEP_2)
	v_fma_f64 v[120:121], v[102:103], s[10:11], -v[118:119]
	v_fma_f64 v[62:63], v[102:103], s[10:11], v[118:119]
	v_add_f64_e32 v[50:51], v[120:121], v[50:51]
	v_mul_f64_e32 v[120:121], s[30:31], v[128:129]
	s_delay_alu instid0(VALU_DEP_3) | instskip(SKIP_1) | instid1(VALU_DEP_3)
	v_add_f64_e32 v[54:55], v[62:63], v[54:55]
	v_mul_f64_e32 v[128:129], s[28:29], v[134:135]
	v_fma_f64 v[122:123], v[104:105], s[24:25], v[120:121]
	v_fma_f64 v[62:63], v[104:105], s[54:55], v[120:121]
	s_delay_alu instid0(VALU_DEP_2) | instskip(SKIP_1) | instid1(VALU_DEP_3)
	v_add_f64_e32 v[48:49], v[122:123], v[48:49]
	v_mul_f64_e32 v[122:123], s[24:25], v[124:125]
	v_add_f64_e32 v[52:53], v[62:63], v[52:53]
	s_delay_alu instid0(VALU_DEP_2) | instskip(SKIP_1) | instid1(VALU_DEP_2)
	v_fma_f64 v[62:63], v[108:109], s[30:31], v[122:123]
	v_fma_f64 v[124:125], v[108:109], s[30:31], -v[122:123]
	v_add_f64_e32 v[62:63], v[62:63], v[54:55]
	v_fma_f64 v[54:55], v[112:113], s[26:27], v[128:129]
	s_delay_alu instid0(VALU_DEP_3) | instskip(SKIP_1) | instid1(VALU_DEP_3)
	v_add_f64_e32 v[124:125], v[124:125], v[50:51]
	v_fma_f64 v[50:51], v[112:113], s[42:43], v[128:129]
	v_add_f64_e32 v[54:55], v[54:55], v[52:53]
	v_add_f64_e32 v[52:53], v[74:75], v[62:63]
	v_fma_f64 v[62:63], v[80:81], s[8:9], v[167:168]
	s_delay_alu instid0(VALU_DEP_4) | instskip(SKIP_1) | instid1(VALU_DEP_3)
	v_add_f64_e32 v[50:51], v[50:51], v[48:49]
	v_fma_f64 v[48:49], v[116:117], s[28:29], -v[132:133]
	v_add_f64_e32 v[56:57], v[62:63], v[56:57]
	v_fma_f64 v[62:63], v[82:83], s[10:11], v[193:194]
	s_delay_alu instid0(VALU_DEP_3) | instskip(NEXT) | instid1(VALU_DEP_2)
	v_add_f64_e32 v[48:49], v[48:49], v[124:125]
	v_add_f64_e32 v[58:59], v[62:63], v[58:59]
	v_fma_f64 v[62:63], v[84:85], s[42:43], v[195:196]
	s_delay_alu instid0(VALU_DEP_1) | instskip(SKIP_1) | instid1(VALU_DEP_1)
	v_add_f64_e32 v[56:57], v[62:63], v[56:57]
	v_fma_f64 v[62:63], v[86:87], s[28:29], v[197:198]
	v_add_f64_e32 v[58:59], v[62:63], v[58:59]
	v_fma_f64 v[62:63], v[88:89], s[54:55], v[199:200]
	s_delay_alu instid0(VALU_DEP_1) | instskip(SKIP_1) | instid1(VALU_DEP_1)
	v_add_f64_e32 v[56:57], v[62:63], v[56:57]
	v_fma_f64 v[62:63], v[92:93], s[30:31], v[201:202]
	;; [unrolled: 5-line block ×4, first 2 shown]
	v_add_f64_e32 v[62:63], v[62:63], v[58:59]
	v_fma_f64 v[58:59], v[112:113], s[52:53], v[216:217]
	s_delay_alu instid0(VALU_DEP_1) | instskip(NEXT) | instid1(VALU_DEP_3)
	v_add_f64_e32 v[58:59], v[58:59], v[56:57]
	v_add_f64_e32 v[56:57], v[64:65], v[62:63]
	v_fma_f64 v[62:63], v[78:79], s[30:31], v[157:158]
	v_fma_f64 v[64:65], v[80:81], s[34:35], v[159:160]
	s_delay_alu instid0(VALU_DEP_2) | instskip(NEXT) | instid1(VALU_DEP_2)
	v_add_f64_e32 v[62:63], v[62:63], v[66:67]
	v_add_f64_e32 v[60:61], v[64:65], v[60:61]
	v_fma_f64 v[64:65], v[82:83], s[40:41], v[165:166]
	v_fma_f64 v[66:67], v[116:117], s[10:11], v[191:192]
	s_delay_alu instid0(VALU_DEP_2) | instskip(SKIP_1) | instid1(VALU_DEP_1)
	v_add_f64_e32 v[62:63], v[64:65], v[62:63]
	v_fma_f64 v[64:65], v[84:85], s[0:1], v[171:172]
	v_add_f64_e32 v[60:61], v[64:65], v[60:61]
	v_fma_f64 v[64:65], v[86:87], s[6:7], v[173:174]
	s_delay_alu instid0(VALU_DEP_1) | instskip(SKIP_1) | instid1(VALU_DEP_1)
	v_add_f64_e32 v[62:63], v[64:65], v[62:63]
	v_fma_f64 v[64:65], v[88:89], s[42:43], v[175:176]
	v_add_f64_e32 v[60:61], v[64:65], v[60:61]
	v_fma_f64 v[64:65], v[92:93], s[28:29], v[177:178]
	s_delay_alu instid0(VALU_DEP_1) | instskip(SKIP_1) | instid1(VALU_DEP_1)
	;; [unrolled: 5-line block ×4, first 2 shown]
	v_add_f64_e32 v[64:65], v[64:65], v[62:63]
	v_fma_f64 v[62:63], v[112:113], s[8:9], v[189:190]
	v_add_f64_e32 v[62:63], v[62:63], v[60:61]
	s_delay_alu instid0(VALU_DEP_3) | instskip(SKIP_4) | instid1(VALU_DEP_4)
	v_add_f64_e32 v[60:61], v[66:67], v[64:65]
	v_fma_f64 v[64:65], v[76:77], s[52:53], v[70:71]
	v_fma_f64 v[66:67], v[78:79], s[22:23], v[72:73]
	;; [unrolled: 1-line block ×4, first 2 shown]
	v_add_f64_e32 v[64:65], v[64:65], v[185:186]
	s_delay_alu instid0(VALU_DEP_4) | instskip(SKIP_1) | instid1(VALU_DEP_3)
	v_add_f64_e32 v[66:67], v[66:67], v[68:69]
	v_fma_f64 v[68:69], v[84:85], s[34:35], v[136:137]
	v_add_f64_e32 v[64:65], v[70:71], v[64:65]
	v_fma_f64 v[70:71], v[86:87], s[40:41], v[138:139]
	s_delay_alu instid0(VALU_DEP_4) | instskip(SKIP_1) | instid1(VALU_DEP_4)
	v_add_f64_e32 v[66:67], v[72:73], v[66:67]
	v_fma_f64 v[72:73], v[88:89], s[8:9], v[140:141]
	v_add_f64_e32 v[64:65], v[68:69], v[64:65]
	v_fma_f64 v[68:69], v[92:93], s[10:11], v[142:143]
	s_delay_alu instid0(VALU_DEP_4) | instskip(SKIP_1) | instid1(VALU_DEP_4)
	;; [unrolled: 5-line block ×4, first 2 shown]
	v_add_f64_e32 v[66:67], v[72:73], v[66:67]
	v_fma_f64 v[72:73], v[112:113], s[36:37], v[153:154]
	v_add_f64_e32 v[64:65], v[68:69], v[64:65]
	v_fma_f64 v[68:69], v[116:117], s[38:39], v[155:156]
	s_delay_alu instid0(VALU_DEP_4) | instskip(NEXT) | instid1(VALU_DEP_3)
	v_add_f64_e32 v[70:71], v[70:71], v[66:67]
	v_add_f64_e32 v[66:67], v[72:73], v[64:65]
	s_delay_alu instid0(VALU_DEP_2) | instskip(SKIP_1) | instid1(VALU_DEP_1)
	v_add_f64_e32 v[64:65], v[68:69], v[70:71]
	v_mul_lo_u16 v68, v250, 17
	v_and_b32_e32 v68, 0xffff, v68
	s_delay_alu instid0(VALU_DEP_1)
	v_add_lshl_u32 v68, v251, v68, 4
	ds_store_b128 v68, v[12:15]
	ds_store_b128 v68, v[28:31] offset:16
	ds_store_b128 v68, v[32:35] offset:32
	;; [unrolled: 1-line block ×16, first 2 shown]
.LBB0_7:
	s_or_b32 exec_lo, exec_lo, s33
	v_add_co_u32 v48, null, v250, 34
	v_lshlrev_b32_e32 v41, 6, v250
	s_load_b128 s[4:7], s[4:5], 0x0
	global_wb scope:SCOPE_SE
	s_wait_dscnt 0x0
	v_and_b32_e32 v8, 0xff, v48
	s_wait_kmcnt 0x0
	s_barrier_signal -1
	s_barrier_wait -1
	global_inv scope:SCOPE_SE
	s_clause 0x2
	global_load_b128 v[228:231], v41, s[2:3] offset:16
	global_load_b128 v[20:23], v41, s[2:3]
	global_load_b128 v[244:247], v41, s[2:3] offset:32
	v_mul_lo_u16 v8, 0xf1, v8
	global_load_b128 v[16:19], v41, s[2:3] offset:48
	v_add_lshl_u32 v153, v251, v250, 4
	s_mov_b32 s10, 0x134454ff
	s_mov_b32 s11, 0x3fee6f0e
	v_lshrrev_b16 v8, 12, v8
	s_mov_b32 s17, 0xbfee6f0e
	s_wait_alu 0xfffe
	s_mov_b32 s16, s10
	s_mov_b32 s0, 0x4755a5e
	;; [unrolled: 1-line block ×3, first 2 shown]
	v_mul_lo_u16 v8, v8, 17
	s_mov_b32 s9, 0xbfe2cf23
	s_wait_alu 0xfffe
	s_mov_b32 s8, s0
	s_delay_alu instid0(VALU_DEP_1) | instskip(NEXT) | instid1(VALU_DEP_1)
	v_sub_nc_u16 v40, v48, v8
	v_lshlrev_b16 v8, 2, v40
	v_and_b32_e32 v12, 0xff, v40
	s_delay_alu instid0(VALU_DEP_2) | instskip(NEXT) | instid1(VALU_DEP_1)
	v_and_b32_e32 v8, 0xfc, v8
	v_lshlrev_b32_e32 v8, 4, v8
	s_clause 0x3
	global_load_b128 v[240:243], v8, s[2:3]
	global_load_b128 v[236:239], v8, s[2:3] offset:16
	global_load_b128 v[232:235], v8, s[2:3] offset:32
	;; [unrolled: 1-line block ×3, first 2 shown]
	ds_load_b128 v[42:45], v153 offset:816
	ds_load_b128 v[49:52], v153 offset:1632
	;; [unrolled: 1-line block ×13, first 2 shown]
	v_lshlrev_b32_e32 v8, 5, v250
	s_delay_alu instid0(VALU_DEP_1)
	v_add_nc_u32_e32 v11, 0x220, v8
	s_wait_loadcnt_dscnt 0x70b
	v_mul_f64_e32 v[97:98], v[51:52], v[230:231]
	s_wait_loadcnt 0x6
	v_mul_f64_e32 v[101:102], v[42:43], v[22:23]
	s_wait_loadcnt_dscnt 0x50a
	v_mul_f64_e32 v[99:100], v[55:56], v[246:247]
	v_mul_f64_e32 v[105:106], v[49:50], v[230:231]
	;; [unrolled: 1-line block ×4, first 2 shown]
	s_wait_loadcnt_dscnt 0x409
	v_mul_f64_e32 v[103:104], v[59:60], v[18:19]
	v_mul_f64_e32 v[109:110], v[57:58], v[18:19]
	s_wait_dscnt 0x7
	v_mul_f64_e32 v[113:114], v[67:68], v[230:231]
	s_wait_dscnt 0x6
	v_mul_f64_e32 v[115:116], v[71:72], v[246:247]
	v_mul_f64_e32 v[121:122], v[65:66], v[230:231]
	;; [unrolled: 1-line block ×5, first 2 shown]
	s_wait_dscnt 0x5
	v_mul_f64_e32 v[119:120], v[75:76], v[18:19]
	v_mul_f64_e32 v[125:126], v[73:74], v[18:19]
	s_wait_loadcnt_dscnt 0x303
	v_mul_f64_e32 v[127:128], v[83:84], v[242:243]
	s_wait_loadcnt_dscnt 0x202
	;; [unrolled: 2-line block ×3, first 2 shown]
	v_mul_f64_e32 v[133:134], v[91:92], v[234:235]
	v_mul_f64_e32 v[135:136], v[85:86], v[238:239]
	;; [unrolled: 1-line block ×4, first 2 shown]
	s_wait_loadcnt_dscnt 0x0
	v_mul_f64_e32 v[137:138], v[95:96], v[226:227]
	v_mul_f64_e32 v[141:142], v[93:94], v[226:227]
	v_fma_f64 v[97:98], v[49:50], v[228:229], -v[97:98]
	v_fma_f64 v[53:54], v[53:54], v[244:245], -v[99:100]
	v_fma_f64 v[99:100], v[44:45], v[20:21], v[101:102]
	v_fma_f64 v[101:102], v[51:52], v[228:229], v[105:106]
	;; [unrolled: 1-line block ×3, first 2 shown]
	v_fma_f64 v[46:47], v[42:43], v[20:21], -v[46:47]
	v_fma_f64 v[57:58], v[57:58], v[16:17], -v[103:104]
	v_fma_f64 v[59:60], v[59:60], v[16:17], v[109:110]
	v_fma_f64 v[65:66], v[65:66], v[228:229], -v[113:114]
	v_fma_f64 v[69:70], v[69:70], v[244:245], -v[115:116]
	v_fma_f64 v[67:68], v[67:68], v[228:229], v[121:122]
	v_fma_f64 v[71:72], v[71:72], v[244:245], v[123:124]
	v_fma_f64 v[61:62], v[61:62], v[20:21], -v[111:112]
	v_fma_f64 v[63:64], v[63:64], v[20:21], v[117:118]
	v_fma_f64 v[73:74], v[73:74], v[16:17], -v[119:120]
	v_fma_f64 v[75:76], v[75:76], v[16:17], v[125:126]
	ds_load_b128 v[42:45], v153
	ds_load_b128 v[49:52], v153 offset:272
	global_wb scope:SCOPE_SE
	s_wait_dscnt 0x0
	s_barrier_signal -1
	s_barrier_wait -1
	global_inv scope:SCOPE_SE
	v_fma_f64 v[81:82], v[81:82], v[240:241], -v[127:128]
	v_fma_f64 v[85:86], v[85:86], v[236:237], -v[131:132]
	;; [unrolled: 1-line block ×3, first 2 shown]
	v_fma_f64 v[87:88], v[87:88], v[236:237], v[135:136]
	v_fma_f64 v[91:92], v[91:92], v[232:233], v[139:140]
	;; [unrolled: 1-line block ×3, first 2 shown]
	v_fma_f64 v[93:94], v[93:94], v[224:225], -v[137:138]
	v_fma_f64 v[95:96], v[95:96], v[224:225], v[141:142]
	v_add_f64_e32 v[103:104], v[97:98], v[53:54]
	v_add_f64_e32 v[133:134], v[44:45], v[99:100]
	v_add_f64_e64 v[145:146], v[99:100], -v[101:102]
	v_add_f64_e32 v[107:108], v[101:102], v[55:56]
	v_add_f64_e32 v[109:110], v[42:43], v[46:47]
	;; [unrolled: 1-line block ×4, first 2 shown]
	v_add_f64_e64 v[117:118], v[46:47], -v[97:98]
	v_add_f64_e32 v[115:116], v[65:66], v[69:70]
	v_add_f64_e64 v[121:122], v[57:58], -v[53:54]
	v_add_f64_e32 v[123:124], v[67:68], v[71:72]
	v_add_f64_e64 v[113:114], v[99:100], -v[59:60]
	v_add_f64_e64 v[129:130], v[97:98], -v[46:47]
	v_add_f64_e32 v[119:120], v[61:62], v[73:74]
	v_add_f64_e32 v[125:126], v[63:64], v[75:76]
	v_add_f64_e64 v[131:132], v[53:54], -v[57:58]
	v_add_f64_e64 v[46:47], v[46:47], -v[57:58]
	;; [unrolled: 1-line block ×3, first 2 shown]
	v_add_f64_e32 v[154:155], v[49:50], v[61:62]
	v_add_f64_e32 v[156:157], v[51:52], v[63:64]
	v_add_f64_e64 v[127:128], v[101:102], -v[55:56]
	v_add_f64_e64 v[139:140], v[97:98], -v[53:54]
	;; [unrolled: 1-line block ×11, first 2 shown]
	v_add_f64_e32 v[135:136], v[85:86], v[89:90]
	v_add_f64_e64 v[63:64], v[67:68], -v[63:64]
	v_add_f64_e32 v[141:142], v[87:88], v[91:92]
	v_add_f64_e64 v[164:165], v[73:74], -v[69:70]
	v_add_f64_e32 v[137:138], v[81:82], v[93:94]
	v_add_f64_e32 v[143:144], v[83:84], v[95:96]
	v_add_f64_e64 v[174:175], v[81:82], -v[93:94]
	v_fma_f64 v[103:104], v[103:104], -0.5, v[42:43]
	v_add_f64_e32 v[101:102], v[133:134], v[101:102]
	v_add_f64_e64 v[133:134], v[81:82], -v[85:86]
	v_fma_f64 v[107:108], v[107:108], -0.5, v[44:45]
	v_add_f64_e32 v[97:98], v[109:110], v[97:98]
	v_fma_f64 v[42:43], v[105:106], -0.5, v[42:43]
	v_fma_f64 v[44:45], v[111:112], -0.5, v[44:45]
	v_add_f64_e64 v[111:112], v[71:72], -v[75:76]
	v_fma_f64 v[115:116], v[115:116], -0.5, v[49:50]
	v_add_f64_e32 v[109:110], v[117:118], v[121:122]
	v_fma_f64 v[117:118], v[123:124], -0.5, v[51:52]
	v_add_f64_e64 v[121:122], v[83:84], -v[95:96]
	v_add_f64_e64 v[123:124], v[87:88], -v[91:92]
	v_fma_f64 v[49:50], v[119:120], -0.5, v[49:50]
	v_fma_f64 v[51:52], v[125:126], -0.5, v[51:52]
	v_add_f64_e32 v[119:120], v[77:78], v[81:82]
	v_add_f64_e32 v[125:126], v[79:80], v[83:84]
	;; [unrolled: 1-line block ×6, first 2 shown]
	v_add_f64_e64 v[147:148], v[83:84], -v[87:88]
	v_add_f64_e64 v[83:84], v[87:88], -v[83:84]
	;; [unrolled: 1-line block ×7, first 2 shown]
	v_add_f64_e32 v[99:100], v[99:100], v[149:150]
	v_add_f64_e64 v[149:150], v[95:96], -v[91:92]
	v_fma_f64 v[135:136], v[135:136], -0.5, v[77:78]
	v_fma_f64 v[141:142], v[141:142], -0.5, v[79:80]
	v_add_f64_e32 v[162:163], v[162:163], v[164:165]
	v_fma_f64 v[77:78], v[137:138], -0.5, v[77:78]
	v_add_f64_e64 v[137:138], v[85:86], -v[89:90]
	v_fma_f64 v[79:80], v[143:144], -0.5, v[79:80]
	v_add_f64_e64 v[143:144], v[93:94], -v[89:90]
	v_fma_f64 v[156:157], v[113:114], s[10:11], v[103:104]
	v_fma_f64 v[103:104], v[113:114], s[16:17], v[103:104]
	;; [unrolled: 1-line block ×16, first 2 shown]
	v_add_f64_e32 v[85:86], v[119:120], v[85:86]
	v_add_f64_e32 v[87:88], v[125:126], v[87:88]
	;; [unrolled: 1-line block ×10, first 2 shown]
	v_fma_f64 v[119:120], v[121:122], s[10:11], v[135:136]
	v_fma_f64 v[125:126], v[121:122], s[16:17], v[135:136]
	;; [unrolled: 1-line block ×8, first 2 shown]
	v_add_f64_e32 v[97:98], v[133:134], v[143:144]
	v_add_f64_e32 v[143:144], v[83:84], v[154:155]
	v_fma_f64 v[67:68], v[127:128], s[0:1], v[156:157]
	s_wait_alu 0xfffe
	v_fma_f64 v[83:84], v[139:140], s[8:9], v[178:179]
	v_fma_f64 v[69:70], v[127:128], s[8:9], v[103:104]
	v_fma_f64 v[71:72], v[113:114], s[0:1], v[176:177]
	v_fma_f64 v[103:104], v[139:140], s[0:1], v[107:108]
	v_fma_f64 v[107:108], v[46:47], s[8:9], v[180:181]
	v_fma_f64 v[81:82], v[113:114], s[8:9], v[42:43]
	v_fma_f64 v[46:47], v[46:47], s[0:1], v[44:45]
	v_fma_f64 v[113:114], v[160:161], s[0:1], v[182:183]
	v_fma_f64 v[145:146], v[170:171], s[8:9], v[186:187]
	v_add_f64_e32 v[133:134], v[147:148], v[149:150]
	v_fma_f64 v[127:128], v[158:159], s[0:1], v[184:185]
	v_fma_f64 v[147:148], v[61:62], s[8:9], v[188:189]
	;; [unrolled: 1-line block ×6, first 2 shown]
	v_add_f64_e32 v[85:86], v[85:86], v[89:90]
	v_add_f64_e32 v[87:88], v[87:88], v[91:92]
	;; [unrolled: 1-line block ×6, first 2 shown]
	v_add_lshl_u32 v155, v251, v12, 4
	v_lshl_add_u32 v154, v250, 4, v248
	v_fma_f64 v[89:90], v[123:124], s[0:1], v[119:120]
	v_fma_f64 v[91:92], v[123:124], s[8:9], v[125:126]
	;; [unrolled: 1-line block ×8, first 2 shown]
	s_mov_b32 s0, 0x372fe950
	s_mov_b32 s1, 0x3fd3c6ef
	s_wait_alu 0xfffe
	v_fma_f64 v[53:54], v[109:110], s[0:1], v[67:68]
	v_fma_f64 v[55:56], v[131:132], s[0:1], v[83:84]
	;; [unrolled: 1-line block ×16, first 2 shown]
	v_add_f64_e32 v[85:86], v[85:86], v[93:94]
	v_add_f64_e32 v[87:88], v[87:88], v[95:96]
	v_fma_f64 v[89:90], v[97:98], s[0:1], v[89:90]
	v_fma_f64 v[93:94], v[97:98], s[0:1], v[91:92]
	;; [unrolled: 1-line block ×8, first 2 shown]
	v_add_co_u32 v9, s0, s2, v41
	s_wait_alu 0xf1ff
	v_add_co_ci_u32_e64 v10, null, s3, 0, s0
	ds_store_b128 v153, v[42:45]
	ds_store_b128 v153, v[53:56] offset:272
	ds_store_b128 v153, v[61:64] offset:544
	;; [unrolled: 1-line block ×14, first 2 shown]
	v_sub_co_u32 v40, s0, v9, v8
	s_wait_alu 0xf1ff
	v_subrev_co_ci_u32_e64 v41, s0, 0, v10, s0
	v_lshlrev_b32_e32 v9, 5, v48
	v_add_nc_u32_e32 v10, 0x660, v8
	v_add_nc_u32_e32 v8, 0x880, v8
	global_wb scope:SCOPE_SE
	s_wait_dscnt 0x0
	s_barrier_signal -1
	s_barrier_wait -1
	global_inv scope:SCOPE_SE
	s_clause 0x9
	global_load_b128 v[12:15], v[40:41], off offset:1088
	global_load_b128 v[252:255], v[40:41], off offset:1104
	global_load_b128 v[28:31], v11, s[2:3] offset:1088
	global_load_b128 v[24:27], v11, s[2:3] offset:1104
	;; [unrolled: 1-line block ×8, first 2 shown]
	ds_load_b128 v[80:83], v153 offset:1360
	ds_load_b128 v[84:87], v153 offset:2720
	;; [unrolled: 1-line block ×11, first 2 shown]
	s_mov_b32 s0, 0xe8584caa
	s_mov_b32 s1, 0x3febb67a
	;; [unrolled: 1-line block ×3, first 2 shown]
	s_wait_alu 0xfffe
	s_mov_b32 s2, s0
	s_wait_loadcnt_dscnt 0x90a
	v_mul_f64_e32 v[124:125], v[82:83], v[14:15]
	v_mul_f64_e32 v[126:127], v[80:81], v[14:15]
	s_wait_loadcnt_dscnt 0x809
	v_mul_f64_e32 v[128:129], v[86:87], v[254:255]
	v_mul_f64_e32 v[130:131], v[84:85], v[254:255]
	;; [unrolled: 3-line block ×6, first 2 shown]
	s_wait_loadcnt_dscnt 0x304
	v_mul_f64_e32 v[148:149], v[106:107], v[46:47]
	s_wait_loadcnt_dscnt 0x203
	v_mul_f64_e32 v[150:151], v[110:111], v[42:43]
	v_mul_f64_e32 v[156:157], v[104:105], v[46:47]
	;; [unrolled: 1-line block ×3, first 2 shown]
	s_wait_loadcnt_dscnt 0x102
	v_mul_f64_e32 v[160:161], v[114:115], v[50:51]
	s_wait_loadcnt_dscnt 0x1
	v_mul_f64_e32 v[162:163], v[118:119], v[10:11]
	v_mul_f64_e32 v[164:165], v[112:113], v[50:51]
	;; [unrolled: 1-line block ×3, first 2 shown]
	s_clause 0x8
	scratch_store_b128 off, v[12:15], off
	scratch_store_b128 off, v[24:27], off offset:16
	scratch_store_b128 off, v[28:31], off offset:32
	;; [unrolled: 1-line block ×8, first 2 shown]
	v_fma_f64 v[124:125], v[80:81], v[12:13], -v[124:125]
	v_fma_f64 v[126:127], v[82:83], v[12:13], v[126:127]
	v_fma_f64 v[128:129], v[84:85], v[252:253], -v[128:129]
	v_fma_f64 v[130:131], v[86:87], v[252:253], v[130:131]
	v_fma_f64 v[132:133], v[88:89], v[28:29], -v[132:133]
	v_fma_f64 v[134:135], v[90:91], v[28:29], v[134:135]
	v_fma_f64 v[136:137], v[92:93], v[24:25], -v[136:137]
	v_fma_f64 v[138:139], v[94:95], v[24:25], v[138:139]
	v_fma_f64 v[96:97], v[96:97], v[36:37], -v[140:141]
	v_fma_f64 v[98:99], v[98:99], v[36:37], v[142:143]
	v_fma_f64 v[100:101], v[100:101], v[32:33], -v[144:145]
	v_fma_f64 v[102:103], v[102:103], v[32:33], v[146:147]
	v_fma_f64 v[104:105], v[104:105], v[44:45], -v[148:149]
	v_fma_f64 v[108:109], v[108:109], v[40:41], -v[150:151]
	v_fma_f64 v[106:107], v[106:107], v[44:45], v[156:157]
	v_fma_f64 v[110:111], v[110:111], v[40:41], v[158:159]
	v_fma_f64 v[112:113], v[112:113], v[48:49], -v[160:161]
	v_fma_f64 v[140:141], v[116:117], v[8:9], -v[162:163]
	v_fma_f64 v[114:115], v[114:115], v[48:49], v[164:165]
	v_fma_f64 v[142:143], v[118:119], v[8:9], v[166:167]
	ds_load_b128 v[80:83], v153
	ds_load_b128 v[84:87], v153 offset:272
	ds_load_b128 v[88:91], v153 offset:544
	;; [unrolled: 1-line block ×3, first 2 shown]
	v_add_f64_e32 v[116:117], v[124:125], v[128:129]
	v_add_f64_e32 v[118:119], v[126:127], v[130:131]
	s_wait_dscnt 0x3
	v_add_f64_e32 v[164:165], v[80:81], v[124:125]
	v_add_f64_e64 v[166:167], v[126:127], -v[130:131]
	v_add_f64_e32 v[144:145], v[132:133], v[136:137]
	v_add_f64_e32 v[146:147], v[134:135], v[138:139]
	;; [unrolled: 1-line block ×3, first 2 shown]
	s_wait_dscnt 0x2
	v_add_f64_e32 v[168:169], v[84:85], v[132:133]
	v_add_f64_e32 v[148:149], v[96:97], v[100:101]
	;; [unrolled: 1-line block ×5, first 2 shown]
	s_wait_dscnt 0x1
	v_add_f64_e32 v[172:173], v[88:89], v[96:97]
	v_add_f64_e32 v[158:159], v[106:107], v[110:111]
	;; [unrolled: 1-line block ×4, first 2 shown]
	s_wait_dscnt 0x0
	v_add_f64_e32 v[176:177], v[92:93], v[104:105]
	v_add_f64_e32 v[162:163], v[114:115], v[142:143]
	;; [unrolled: 1-line block ×5, first 2 shown]
	v_add_f64_e64 v[124:125], v[124:125], -v[128:129]
	v_add_f64_e64 v[188:189], v[134:135], -v[138:139]
	;; [unrolled: 1-line block ×9, first 2 shown]
	v_fma_f64 v[184:185], v[116:117], -0.5, v[80:81]
	v_fma_f64 v[186:187], v[118:119], -0.5, v[82:83]
	v_add_f64_e32 v[80:81], v[164:165], v[128:129]
	v_fma_f64 v[144:145], v[144:145], -0.5, v[84:85]
	v_fma_f64 v[146:147], v[146:147], -0.5, v[86:87]
	v_add_f64_e32 v[82:83], v[126:127], v[130:131]
	v_fma_f64 v[148:149], v[148:149], -0.5, v[88:89]
	v_fma_f64 v[150:151], v[150:151], -0.5, v[90:91]
	;; [unrolled: 1-line block ×3, first 2 shown]
	v_add_f64_e32 v[92:93], v[168:169], v[136:137]
	v_fma_f64 v[158:159], v[158:159], -0.5, v[94:95]
	v_add_f64_e32 v[94:95], v[170:171], v[138:139]
	v_fma_f64 v[160:161], v[160:161], -0.5, v[120:121]
	;; [unrolled: 2-line block ×3, first 2 shown]
	v_add_f64_e32 v[118:119], v[174:175], v[102:103]
	v_add_f64_e32 v[132:133], v[176:177], v[108:109]
	;; [unrolled: 1-line block ×5, first 2 shown]
	v_fma_f64 v[84:85], v[166:167], s[0:1], v[184:185]
	s_wait_alu 0xfffe
	v_fma_f64 v[88:89], v[166:167], s[2:3], v[184:185]
	v_fma_f64 v[86:87], v[124:125], s[2:3], v[186:187]
	v_fma_f64 v[90:91], v[124:125], s[0:1], v[186:187]
	v_fma_f64 v[96:97], v[188:189], s[0:1], v[144:145]
	v_fma_f64 v[104:105], v[188:189], s[2:3], v[144:145]
	v_fma_f64 v[98:99], v[190:191], s[2:3], v[146:147]
	v_fma_f64 v[106:107], v[190:191], s[0:1], v[146:147]
	v_fma_f64 v[128:129], v[192:193], s[0:1], v[148:149]
	v_fma_f64 v[136:137], v[192:193], s[2:3], v[148:149]
	v_fma_f64 v[130:131], v[194:195], s[2:3], v[150:151]
	v_fma_f64 v[138:139], v[194:195], s[0:1], v[150:151]
	v_fma_f64 v[124:125], v[196:197], s[0:1], v[156:157]
	v_fma_f64 v[120:121], v[196:197], s[2:3], v[156:157]
	v_fma_f64 v[126:127], v[198:199], s[2:3], v[158:159]
	v_fma_f64 v[122:123], v[198:199], s[0:1], v[158:159]
	v_fma_f64 v[108:109], v[200:201], s[0:1], v[160:161]
	v_fma_f64 v[100:101], v[200:201], s[2:3], v[160:161]
	v_fma_f64 v[110:111], v[202:203], s[2:3], v[162:163]
	v_fma_f64 v[102:103], v[202:203], s[0:1], v[162:163]
	v_add_nc_u32_e32 v156, v152, v248
	ds_store_b128 v154, v[80:83]
	ds_store_b128 v154, v[92:95] offset:272
	ds_store_b128 v154, v[88:91] offset:2720
	;; [unrolled: 1-line block ×14, first 2 shown]
	global_wb scope:SCOPE_SE
	s_wait_storecnt_dscnt 0x0
	s_barrier_signal -1
	s_barrier_wait -1
	global_inv scope:SCOPE_SE
	s_and_saveexec_b32 s2, vcc_lo
	s_cbranch_execz .LBB0_9
; %bb.8:
	global_load_b128 v[140:143], v152, s[12:13] offset:4080
	s_add_nc_u64 s[0:1], s[12:13], 0xff0
	s_clause 0x3
	global_load_b128 v[144:147], v152, s[0:1] offset:240
	global_load_b128 v[148:151], v152, s[0:1] offset:480
	;; [unrolled: 1-line block ×4, first 2 shown]
	ds_load_b128 v[165:168], v154
	ds_load_b128 v[169:172], v154 offset:240
	ds_load_b128 v[173:176], v154 offset:480
	s_wait_loadcnt_dscnt 0x301
	v_mul_f64_e32 v[181:182], v[171:172], v[146:147]
	v_mul_f64_e32 v[177:178], v[167:168], v[142:143]
	;; [unrolled: 1-line block ×4, first 2 shown]
	s_delay_alu instid0(VALU_DEP_4) | instskip(NEXT) | instid1(VALU_DEP_4)
	v_fma_f64 v[169:170], v[169:170], v[144:145], -v[181:182]
	v_fma_f64 v[165:166], v[165:166], v[140:141], -v[177:178]
	s_delay_alu instid0(VALU_DEP_4)
	v_fma_f64 v[167:168], v[167:168], v[140:141], v[142:143]
	ds_load_b128 v[140:143], v154 offset:720
	global_load_b128 v[177:180], v152, s[0:1] offset:1200
	v_fma_f64 v[171:172], v[171:172], v[144:145], v[146:147]
	s_wait_loadcnt_dscnt 0x301
	v_mul_f64_e32 v[144:145], v[175:176], v[150:151]
	v_mul_f64_e32 v[146:147], v[173:174], v[150:151]
	s_wait_loadcnt_dscnt 0x200
	v_mul_f64_e32 v[181:182], v[142:143], v[159:160]
	v_mul_f64_e32 v[159:160], v[140:141], v[159:160]
	s_delay_alu instid0(VALU_DEP_4) | instskip(NEXT) | instid1(VALU_DEP_4)
	v_fma_f64 v[144:145], v[173:174], v[148:149], -v[144:145]
	v_fma_f64 v[146:147], v[175:176], v[148:149], v[146:147]
	ds_load_b128 v[148:151], v154 offset:960
	ds_load_b128 v[173:176], v154 offset:1200
	v_fma_f64 v[140:141], v[140:141], v[157:158], -v[181:182]
	v_fma_f64 v[142:143], v[142:143], v[157:158], v[159:160]
	global_load_b128 v[157:160], v152, s[0:1] offset:1440
	s_wait_loadcnt_dscnt 0x201
	v_mul_f64_e32 v[181:182], v[150:151], v[163:164]
	v_mul_f64_e32 v[163:164], v[148:149], v[163:164]
	s_delay_alu instid0(VALU_DEP_2) | instskip(NEXT) | instid1(VALU_DEP_2)
	v_fma_f64 v[148:149], v[148:149], v[161:162], -v[181:182]
	v_fma_f64 v[150:151], v[150:151], v[161:162], v[163:164]
	global_load_b128 v[161:164], v152, s[0:1] offset:1680
	s_wait_loadcnt_dscnt 0x200
	v_mul_f64_e32 v[181:182], v[175:176], v[179:180]
	v_mul_f64_e32 v[179:180], v[173:174], v[179:180]
	s_delay_alu instid0(VALU_DEP_2) | instskip(NEXT) | instid1(VALU_DEP_2)
	v_fma_f64 v[173:174], v[173:174], v[177:178], -v[181:182]
	v_fma_f64 v[175:176], v[175:176], v[177:178], v[179:180]
	ds_load_b128 v[177:180], v154 offset:1440
	ds_load_b128 v[181:184], v154 offset:1680
	s_wait_loadcnt_dscnt 0x101
	v_mul_f64_e32 v[185:186], v[179:180], v[159:160]
	v_mul_f64_e32 v[159:160], v[177:178], v[159:160]
	s_delay_alu instid0(VALU_DEP_2) | instskip(NEXT) | instid1(VALU_DEP_2)
	v_fma_f64 v[177:178], v[177:178], v[157:158], -v[185:186]
	v_fma_f64 v[179:180], v[179:180], v[157:158], v[159:160]
	s_wait_loadcnt_dscnt 0x0
	v_mul_f64_e32 v[157:158], v[183:184], v[163:164]
	v_mul_f64_e32 v[159:160], v[181:182], v[163:164]
	s_delay_alu instid0(VALU_DEP_2) | instskip(NEXT) | instid1(VALU_DEP_2)
	v_fma_f64 v[157:158], v[181:182], v[161:162], -v[157:158]
	v_fma_f64 v[159:160], v[183:184], v[161:162], v[159:160]
	s_clause 0x1
	global_load_b128 v[161:164], v152, s[0:1] offset:1920
	global_load_b128 v[181:184], v152, s[0:1] offset:2160
	ds_load_b128 v[185:188], v154 offset:1920
	ds_load_b128 v[189:192], v154 offset:2160
	s_wait_loadcnt_dscnt 0x101
	v_mul_f64_e32 v[193:194], v[187:188], v[163:164]
	v_mul_f64_e32 v[163:164], v[185:186], v[163:164]
	s_delay_alu instid0(VALU_DEP_2) | instskip(NEXT) | instid1(VALU_DEP_2)
	v_fma_f64 v[185:186], v[185:186], v[161:162], -v[193:194]
	v_fma_f64 v[187:188], v[187:188], v[161:162], v[163:164]
	s_wait_loadcnt_dscnt 0x0
	v_mul_f64_e32 v[161:162], v[191:192], v[183:184]
	v_mul_f64_e32 v[163:164], v[189:190], v[183:184]
	s_delay_alu instid0(VALU_DEP_2) | instskip(NEXT) | instid1(VALU_DEP_2)
	v_fma_f64 v[161:162], v[189:190], v[181:182], -v[161:162]
	v_fma_f64 v[163:164], v[191:192], v[181:182], v[163:164]
	s_clause 0x1
	global_load_b128 v[181:184], v152, s[0:1] offset:2400
	global_load_b128 v[189:192], v152, s[0:1] offset:2640
	;; [unrolled: 17-line block ×4, first 2 shown]
	ds_load_b128 v[214:217], v154 offset:3360
	ds_load_b128 v[218:221], v154 offset:3600
	s_wait_loadcnt_dscnt 0x101
	v_mul_f64_e32 v[222:223], v[216:217], v[199:200]
	v_mul_f64_e32 v[199:200], v[214:215], v[199:200]
	s_delay_alu instid0(VALU_DEP_2) | instskip(NEXT) | instid1(VALU_DEP_2)
	v_fma_f64 v[214:215], v[214:215], v[197:198], -v[222:223]
	v_fma_f64 v[216:217], v[216:217], v[197:198], v[199:200]
	s_wait_loadcnt_dscnt 0x0
	v_mul_f64_e32 v[197:198], v[220:221], v[212:213]
	v_mul_f64_e32 v[199:200], v[218:219], v[212:213]
	s_delay_alu instid0(VALU_DEP_2) | instskip(NEXT) | instid1(VALU_DEP_2)
	v_fma_f64 v[197:198], v[218:219], v[210:211], -v[197:198]
	v_fma_f64 v[199:200], v[220:221], v[210:211], v[199:200]
	global_load_b128 v[210:213], v152, s[0:1] offset:3840
	ds_load_b128 v[218:221], v154 offset:3840
	s_wait_loadcnt_dscnt 0x0
	v_mul_f64_e32 v[222:223], v[220:221], v[212:213]
	v_mul_f64_e32 v[212:213], v[218:219], v[212:213]
	s_delay_alu instid0(VALU_DEP_2) | instskip(NEXT) | instid1(VALU_DEP_2)
	v_fma_f64 v[218:219], v[218:219], v[210:211], -v[222:223]
	v_fma_f64 v[220:221], v[220:221], v[210:211], v[212:213]
	ds_store_b128 v154, v[165:168]
	ds_store_b128 v154, v[169:172] offset:240
	ds_store_b128 v154, v[144:147] offset:480
	;; [unrolled: 1-line block ×16, first 2 shown]
.LBB0_9:
	s_wait_alu 0xfffe
	s_or_b32 exec_lo, exec_lo, s2
	global_wb scope:SCOPE_SE
	s_wait_dscnt 0x0
	s_barrier_signal -1
	s_barrier_wait -1
	global_inv scope:SCOPE_SE
	s_and_saveexec_b32 s0, vcc_lo
	s_cbranch_execz .LBB0_11
; %bb.10:
	ds_load_b128 v[80:83], v154
	ds_load_b128 v[84:87], v154 offset:240
	ds_load_b128 v[88:91], v154 offset:480
	;; [unrolled: 1-line block ×16, first 2 shown]
.LBB0_11:
	s_wait_alu 0xfffe
	s_or_b32 exec_lo, exec_lo, s0
	v_add_nc_u32_e32 v150, 0x220, v156
	v_add_nc_u32_e32 v149, 0x330, v156
	v_add_nc_u32_e32 v148, 0x440, v156
	global_wb scope:SCOPE_SE
	s_wait_dscnt 0x0
	s_barrier_signal -1
	s_barrier_wait -1
	global_inv scope:SCOPE_SE
	s_and_saveexec_b32 s33, vcc_lo
	s_cbranch_execz .LBB0_13
; %bb.12:
	v_add_f64_e32 v[142:143], v[80:81], v[84:85]
	v_add_f64_e32 v[140:141], v[82:83], v[86:87]
	s_clause 0x1
	scratch_store_b32 off, v148, off offset:168
	scratch_store_b32 off, v149, off offset:172
	s_mov_b32 s24, 0x6c9a05f6
	s_mov_b32 s25, 0xbfe9895b
	;; [unrolled: 1-line block ×6, first 2 shown]
	s_clause 0x3
	scratch_store_b128 off, v[236:239], off offset:144
	scratch_store_b32 off, v152, off offset:160
	scratch_store_b32 off, v150, off offset:176
	;; [unrolled: 1-line block ×3, first 2 shown]
	s_mov_b32 s10, 0xc61f0d01
	s_mov_b32 s11, 0xbfd183b1
	s_mov_b32 s26, 0xeb564b22
	s_mov_b32 s27, 0x3fefdd0d
	s_mov_b32 s43, 0xbfefdd0d
	s_wait_alu 0xfffe
	s_mov_b32 s42, s26
	s_mov_b32 s16, 0x3259b75e
	s_mov_b32 s17, 0x3fb79ee6
	s_mov_b32 s44, 0x7c9e640b
	s_mov_b32 s45, 0x3feca52d
	s_mov_b32 s37, 0xbfeca52d
	s_wait_alu 0xfffe
	s_mov_b32 s36, s44
	;; [unrolled: 7-line block ×3, first 2 shown]
	s_mov_b32 s20, 0x75d4884
	s_mov_b32 s21, 0x3fe7a5f6
	;; [unrolled: 1-line block ×7, first 2 shown]
	v_add_f64_e32 v[142:143], v[142:143], v[88:89]
	v_add_f64_e32 v[140:141], v[140:141], v[90:91]
	s_mov_b32 s41, 0x3fd71e95
	s_mov_b32 s29, 0xbfd71e95
	s_wait_alu 0xfffe
	s_mov_b32 s28, s40
	s_mov_b32 s2, 0x910ea3b9
	;; [unrolled: 1-line block ×7, first 2 shown]
	v_dual_mov_b32 v220, v228 :: v_dual_mov_b32 v221, v229
	v_dual_mov_b32 v222, v230 :: v_dual_mov_b32 v223, v231
	s_mov_b32 s51, 0x3fe9895b
	s_mov_b32 s50, s24
	;; [unrolled: 1-line block ×4, first 2 shown]
	v_dual_mov_b32 v155, v252 :: v_dual_mov_b32 v156, v253
	v_dual_mov_b32 v157, v254 :: v_dual_mov_b32 v158, v255
	;; [unrolled: 1-line block ×7, first 2 shown]
	v_mov_b32_e32 v238, v224
	scratch_store_b32 off, v248, off offset:348 ; 4-byte Folded Spill
	v_add_f64_e32 v[142:143], v[142:143], v[92:93]
	v_add_f64_e32 v[140:141], v[140:141], v[94:95]
	s_delay_alu instid0(VALU_DEP_2) | instskip(NEXT) | instid1(VALU_DEP_2)
	v_add_f64_e32 v[142:143], v[142:143], v[96:97]
	v_add_f64_e32 v[140:141], v[140:141], v[98:99]
	s_delay_alu instid0(VALU_DEP_2) | instskip(NEXT) | instid1(VALU_DEP_2)
	;; [unrolled: 3-line block ×5, first 2 shown]
	v_add_f64_e32 v[146:147], v[142:143], v[136:137]
	v_add_f64_e32 v[144:145], v[140:141], v[138:139]
	v_add_f64_e64 v[142:143], v[136:137], -v[132:133]
	v_add_f64_e32 v[140:141], v[138:139], v[134:135]
	v_add_f64_e32 v[136:137], v[136:137], v[132:133]
	v_add_f64_e64 v[138:139], v[138:139], -v[134:135]
	;; [unrolled: 3-line block ×4, first 2 shown]
	v_mul_f64_e32 v[236:237], s[26:27], v[138:139]
	v_mul_f64_e32 v[228:229], s[44:45], v[142:143]
	v_add_f64_e32 v[146:147], v[146:147], v[124:125]
	v_add_f64_e32 v[148:149], v[144:145], v[126:127]
	v_add_f64_e64 v[126:127], v[116:117], -v[120:121]
	v_add_f64_e32 v[124:125], v[118:119], v[122:123]
	v_add_f64_e32 v[116:117], v[116:117], v[120:121]
	v_add_f64_e64 v[144:145], v[118:119], -v[122:123]
	v_add_f64_e32 v[118:119], v[106:107], v[114:115]
	v_mul_f64_e32 v[52:53], s[44:45], v[130:131]
	v_mul_f64_e32 v[76:77], s[42:43], v[130:131]
	s_wait_alu 0xfffe
	v_mul_f64_e32 v[224:225], s[50:51], v[130:131]
	v_add_f64_e32 v[146:147], v[146:147], v[120:121]
	v_add_f64_e32 v[148:149], v[148:149], v[122:123]
	v_add_f64_e64 v[120:121], v[104:105], -v[112:113]
	v_add_f64_e32 v[104:105], v[104:105], v[112:113]
	v_add_f64_e64 v[122:123], v[106:107], -v[114:115]
	v_add_f64_e32 v[106:107], v[98:99], v[110:111]
	v_mul_f64_e32 v[48:49], s[52:53], v[144:145]
	v_fma_f64 v[54:55], v[128:129], s[18:19], v[52:53]
	v_mul_f64_e32 v[72:73], s[28:29], v[144:145]
	v_fma_f64 v[78:79], v[128:129], s[16:17], v[76:77]
	v_add_f64_e32 v[146:147], v[146:147], v[112:113]
	v_add_f64_e32 v[148:149], v[148:149], v[114:115]
	v_add_f64_e64 v[112:113], v[96:97], -v[108:109]
	v_add_f64_e32 v[96:97], v[96:97], v[108:109]
	v_add_f64_e64 v[114:115], v[98:99], -v[110:111]
	;; [unrolled: 2-line block ×3, first 2 shown]
	v_mul_f64_e32 v[254:255], s[46:47], v[120:121]
	v_mul_f64_e32 v[248:249], s[46:47], v[122:123]
	v_fma_f64 v[50:51], v[116:117], s[10:11], v[48:49]
	v_mul_f64_e32 v[68:69], s[34:35], v[122:123]
	v_fma_f64 v[74:75], v[116:117], s[22:23], v[72:73]
	v_mul_f64_e32 v[242:243], s[36:37], v[122:123]
	v_add_f64_e32 v[146:147], v[146:147], v[108:109]
	v_add_f64_e32 v[110:111], v[148:149], v[110:111]
	v_add_f64_e64 v[108:109], v[92:93], -v[100:101]
	v_add_f64_e32 v[92:93], v[92:93], v[100:101]
	v_mul_f64_e32 v[40:41], s[30:31], v[114:115]
	v_mul_f64_e32 v[36:37], s[30:31], v[112:113]
	v_mul_f64_e32 v[32:33], s[24:25], v[94:95]
	v_mul_f64_e32 v[64:65], s[52:53], v[114:115]
	v_mul_f64_e32 v[8:9], s[52:53], v[94:95]
	v_mul_f64_e32 v[12:13], s[40:41], v[114:115]
	v_fma_f64 v[70:71], v[104:105], s[20:21], v[68:69]
	v_mul_f64_e32 v[226:227], s[36:37], v[114:115]
	v_add_f64_e32 v[100:101], v[146:147], v[100:101]
	v_add_f64_e32 v[102:103], v[110:111], v[102:103]
	v_add_f64_e64 v[146:147], v[88:89], -v[4:5]
	v_add_f64_e32 v[88:89], v[88:89], v[4:5]
	v_add_f64_e64 v[110:111], v[90:91], -v[6:7]
	v_add_f64_e32 v[90:91], v[90:91], v[6:7]
	v_mul_f64_e32 v[14:15], s[24:25], v[108:109]
	v_fma_f64 v[34:35], v[92:93], s[8:9], v[32:33]
	v_fma_f64 v[42:43], v[96:97], s[0:1], v[40:41]
	v_fma_f64 v[38:39], v[106:107], s[0:1], -v[36:37]
	v_fma_f64 v[66:67], v[96:97], s[10:11], v[64:65]
	v_add_f64_e32 v[4:5], v[100:101], v[4:5]
	v_add_f64_e64 v[100:101], v[84:85], -v[0:1]
	v_add_f64_e32 v[6:7], v[102:103], v[6:7]
	v_add_f64_e64 v[102:103], v[86:87], -v[2:3]
	v_add_f64_e32 v[86:87], v[86:87], v[2:3]
	v_add_f64_e32 v[84:85], v[84:85], v[0:1]
	v_mul_f64_e32 v[28:29], s[42:43], v[146:147]
	v_mul_f64_e32 v[24:25], s[42:43], v[110:111]
	;; [unrolled: 1-line block ×3, first 2 shown]
	v_add_f64_e32 v[0:1], v[4:5], v[0:1]
	v_mul_f64_e32 v[148:149], s[24:25], v[100:101]
	v_add_f64_e32 v[2:3], v[6:7], v[2:3]
	v_mul_f64_e32 v[150:151], s[46:47], v[100:101]
	v_mul_f64_e32 v[185:186], s[46:47], v[102:103]
	;; [unrolled: 1-line block ×13, first 2 shown]
	v_fma_f64 v[58:59], v[88:89], s[8:9], v[56:57]
	v_fma_f64 v[169:170], v[86:87], s[8:9], v[148:149]
	v_fma_f64 v[148:149], v[86:87], s[8:9], -v[148:149]
	scratch_store_b128 off, v[0:3], off offset:180 ; 16-byte Folded Spill
	v_fma_f64 v[171:172], v[86:87], s[10:11], v[150:151]
	v_fma_f64 v[199:200], v[84:85], s[10:11], -v[185:186]
	v_fma_f64 v[173:174], v[86:87], s[16:17], v[159:160]
	v_fma_f64 v[201:202], v[84:85], s[16:17], -v[187:188]
	v_fma_f64 v[175:176], v[86:87], s[18:19], -v[161:162]
	v_fma_f64 v[161:162], v[86:87], s[18:19], v[161:162]
	v_fma_f64 v[203:204], v[84:85], s[18:19], v[189:190]
	v_fma_f64 v[189:190], v[84:85], s[18:19], -v[189:190]
	v_fma_f64 v[177:178], v[86:87], s[20:21], -v[163:164]
	v_fma_f64 v[163:164], v[86:87], s[20:21], v[163:164]
	v_fma_f64 v[210:211], v[84:85], s[20:21], v[191:192]
	v_fma_f64 v[191:192], v[84:85], s[20:21], -v[191:192]
	v_fma_f64 v[165:166], v[86:87], s[0:1], v[4:5]
	v_fma_f64 v[4:5], v[86:87], s[0:1], -v[4:5]
	;; [unrolled: 2-line block ×3, first 2 shown]
	v_fma_f64 v[150:151], v[86:87], s[10:11], -v[150:151]
	v_fma_f64 v[159:160], v[86:87], s[16:17], -v[159:160]
	;; [unrolled: 1-line block ×3, first 2 shown]
	v_fma_f64 v[86:87], v[86:87], s[22:23], v[100:101]
	v_mul_f64_e32 v[100:101], s[30:31], v[102:103]
	v_mul_f64_e32 v[102:103], s[28:29], v[102:103]
	v_fma_f64 v[195:196], v[84:85], s[2:3], -v[181:182]
	v_fma_f64 v[181:182], v[84:85], s[2:3], v[181:182]
	v_fma_f64 v[197:198], v[84:85], s[8:9], -v[183:184]
	v_fma_f64 v[183:184], v[84:85], s[8:9], v[183:184]
	v_fma_f64 v[185:186], v[84:85], s[10:11], v[185:186]
	;; [unrolled: 1-line block ×3, first 2 shown]
	v_add_f64_e32 v[169:170], v[82:83], v[169:170]
	v_add_f64_e32 v[0:1], v[82:83], v[148:149]
	;; [unrolled: 1-line block ×10, first 2 shown]
	v_mul_f64_e32 v[150:151], s[24:25], v[144:145]
	v_fma_f64 v[193:194], v[84:85], s[0:1], -v[100:101]
	v_fma_f64 v[100:101], v[84:85], s[0:1], v[100:101]
	v_fma_f64 v[212:213], v[84:85], s[22:23], v[102:103]
	v_fma_f64 v[84:85], v[84:85], s[22:23], -v[102:103]
	v_add_f64_e32 v[195:196], v[80:81], v[195:196]
	v_add_f64_e32 v[181:182], v[80:81], v[181:182]
	;; [unrolled: 1-line block ×6, first 2 shown]
	v_fma_f64 v[102:103], v[104:105], s[18:19], v[242:243]
	scratch_store_b64 off, v[0:1], off offset:340 ; 8-byte Folded Spill
	v_add_f64_e32 v[0:1], v[82:83], v[171:172]
	v_add_f64_e32 v[171:172], v[82:83], v[177:178]
	;; [unrolled: 1-line block ×6, first 2 shown]
	v_mul_f64_e32 v[100:101], s[38:39], v[134:135]
	scratch_store_b64 off, v[0:1], off offset:332 ; 8-byte Folded Spill
	v_add_f64_e32 v[0:1], v[80:81], v[199:200]
	v_mul_f64_e32 v[199:200], s[42:43], v[114:115]
	scratch_store_b64 off, v[0:1], off offset:324 ; 8-byte Folded Spill
	v_add_f64_e32 v[0:1], v[82:83], v[173:174]
	v_add_f64_e32 v[173:174], v[82:83], v[179:180]
	;; [unrolled: 1-line block ×3, first 2 shown]
	v_dual_mov_b32 v207, v232 :: v_dual_mov_b32 v208, v233
	v_dual_mov_b32 v209, v234 :: v_dual_mov_b32 v210, v235
	v_mul_f64_e32 v[234:235], s[26:27], v[142:143]
	v_mov_b32_e32 v211, v205
	v_mul_f64_e32 v[205:206], s[50:51], v[134:135]
	scratch_store_b64 off, v[0:1], off offset:300 ; 8-byte Folded Spill
	v_add_f64_e32 v[0:1], v[80:81], v[201:202]
	v_mul_f64_e32 v[201:202], s[34:35], v[142:143]
	scratch_store_b64 off, v[0:1], off offset:292 ; 8-byte Folded Spill
	v_add_f64_e32 v[0:1], v[82:83], v[161:162]
	scratch_store_b64 off, v[0:1], off offset:284 ; 8-byte Folded Spill
	v_add_f64_e32 v[0:1], v[80:81], v[189:190]
	v_mul_f64_e32 v[189:190], s[24:25], v[126:127]
	scratch_store_b64 off, v[0:1], off offset:276 ; 8-byte Folded Spill
	v_add_f64_e32 v[0:1], v[82:83], v[163:164]
	scratch_store_b64 off, v[0:1], off offset:252 ; 8-byte Folded Spill
	v_add_f64_e32 v[0:1], v[80:81], v[191:192]
	;; [unrolled: 2-line block ×3, first 2 shown]
	v_mul_f64_e32 v[82:83], s[40:41], v[110:111]
	scratch_store_b64 off, v[0:1], off offset:236 ; 8-byte Folded Spill
	v_add_f64_e32 v[0:1], v[80:81], v[84:85]
	v_mul_f64_e32 v[80:81], s[40:41], v[146:147]
	v_mul_f64_e32 v[84:85], s[38:39], v[108:109]
	v_fma_f64 v[6:7], v[88:89], s[22:23], -v[82:83]
	v_fma_f64 v[82:83], v[88:89], s[22:23], v[82:83]
	scratch_store_b64 off, v[0:1], off offset:228 ; 8-byte Folded Spill
	v_fma_f64 v[4:5], v[90:91], s[22:23], v[80:81]
	v_fma_f64 v[86:87], v[98:99], s[2:3], v[84:85]
	v_add_f64_e32 v[6:7], v[6:7], v[193:194]
	v_fma_f64 v[80:81], v[90:91], s[22:23], -v[80:81]
	v_fma_f64 v[84:85], v[98:99], s[2:3], -v[84:85]
	v_add_f64_e32 v[82:83], v[82:83], v[216:217]
	v_add_f64_e32 v[4:5], v[4:5], v[165:166]
	s_delay_alu instid0(VALU_DEP_4) | instskip(NEXT) | instid1(VALU_DEP_2)
	v_add_f64_e32 v[80:81], v[80:81], v[214:215]
	v_add_f64_e32 v[4:5], v[86:87], v[4:5]
	v_mul_f64_e32 v[86:87], s[38:39], v[94:95]
	s_delay_alu instid0(VALU_DEP_3) | instskip(NEXT) | instid1(VALU_DEP_2)
	v_add_f64_e32 v[80:81], v[84:85], v[80:81]
	v_fma_f64 v[159:160], v[92:93], s[2:3], -v[86:87]
	v_fma_f64 v[84:85], v[92:93], s[2:3], v[86:87]
	v_fma_f64 v[86:87], v[136:137], s[16:17], v[236:237]
	s_delay_alu instid0(VALU_DEP_3) | instskip(SKIP_1) | instid1(VALU_DEP_4)
	v_add_f64_e32 v[6:7], v[159:160], v[6:7]
	v_mul_f64_e32 v[159:160], s[34:35], v[112:113]
	v_add_f64_e32 v[82:83], v[84:85], v[82:83]
	s_delay_alu instid0(VALU_DEP_2) | instskip(SKIP_2) | instid1(VALU_DEP_3)
	v_fma_f64 v[161:162], v[106:107], s[20:21], v[159:160]
	v_fma_f64 v[84:85], v[106:107], s[20:21], -v[159:160]
	v_mul_f64_e32 v[159:160], s[44:45], v[146:147]
	v_add_f64_e32 v[4:5], v[161:162], v[4:5]
	v_mul_f64_e32 v[161:162], s[34:35], v[114:115]
	s_delay_alu instid0(VALU_DEP_4) | instskip(NEXT) | instid1(VALU_DEP_2)
	v_add_f64_e32 v[80:81], v[84:85], v[80:81]
	v_fma_f64 v[163:164], v[96:97], s[20:21], -v[161:162]
	v_fma_f64 v[84:85], v[96:97], s[20:21], v[161:162]
	v_mul_f64_e32 v[161:162], s[44:45], v[110:111]
	s_delay_alu instid0(VALU_DEP_3) | instskip(SKIP_1) | instid1(VALU_DEP_4)
	v_add_f64_e32 v[6:7], v[163:164], v[6:7]
	v_mul_f64_e32 v[163:164], s[24:25], v[120:121]
	v_add_f64_e32 v[82:83], v[84:85], v[82:83]
	s_delay_alu instid0(VALU_DEP_2) | instskip(SKIP_2) | instid1(VALU_DEP_3)
	v_fma_f64 v[165:166], v[118:119], s[8:9], v[163:164]
	v_fma_f64 v[84:85], v[118:119], s[8:9], -v[163:164]
	v_mul_f64_e32 v[163:164], s[42:43], v[108:109]
	v_add_f64_e32 v[4:5], v[165:166], v[4:5]
	v_mul_f64_e32 v[165:166], s[24:25], v[122:123]
	s_delay_alu instid0(VALU_DEP_4) | instskip(NEXT) | instid1(VALU_DEP_2)
	v_add_f64_e32 v[80:81], v[84:85], v[80:81]
	v_fma_f64 v[191:192], v[104:105], s[8:9], -v[165:166]
	v_fma_f64 v[84:85], v[104:105], s[8:9], v[165:166]
	v_fma_f64 v[165:166], v[98:99], s[16:17], v[163:164]
	v_fma_f64 v[163:164], v[98:99], s[16:17], -v[163:164]
	s_delay_alu instid0(VALU_DEP_4) | instskip(SKIP_2) | instid1(VALU_DEP_2)
	v_add_f64_e32 v[6:7], v[191:192], v[6:7]
	v_mul_f64_e32 v[191:192], s[44:45], v[126:127]
	v_add_f64_e32 v[82:83], v[84:85], v[82:83]
	v_fma_f64 v[193:194], v[124:125], s[18:19], v[191:192]
	v_fma_f64 v[84:85], v[124:125], s[18:19], -v[191:192]
	s_delay_alu instid0(VALU_DEP_2) | instskip(SKIP_1) | instid1(VALU_DEP_3)
	v_add_f64_e32 v[4:5], v[193:194], v[4:5]
	v_mul_f64_e32 v[193:194], s[44:45], v[144:145]
	v_add_f64_e32 v[80:81], v[84:85], v[80:81]
	s_delay_alu instid0(VALU_DEP_2) | instskip(SKIP_1) | instid1(VALU_DEP_2)
	v_fma_f64 v[212:213], v[116:117], s[18:19], -v[193:194]
	v_fma_f64 v[84:85], v[116:117], s[18:19], v[193:194]
	v_add_f64_e32 v[6:7], v[212:213], v[6:7]
	v_mul_f64_e32 v[212:213], s[46:47], v[134:135]
	s_delay_alu instid0(VALU_DEP_3) | instskip(NEXT) | instid1(VALU_DEP_2)
	v_add_f64_e32 v[82:83], v[84:85], v[82:83]
	v_fma_f64 v[230:231], v[132:133], s[10:11], v[212:213]
	v_fma_f64 v[84:85], v[132:133], s[10:11], -v[212:213]
	s_delay_alu instid0(VALU_DEP_2) | instskip(SKIP_1) | instid1(VALU_DEP_3)
	v_add_f64_e32 v[4:5], v[230:231], v[4:5]
	v_mul_f64_e32 v[230:231], s[46:47], v[130:131]
	v_add_f64_e32 v[80:81], v[84:85], v[80:81]
	s_delay_alu instid0(VALU_DEP_2) | instskip(SKIP_1) | instid1(VALU_DEP_2)
	v_fma_f64 v[232:233], v[128:129], s[10:11], -v[230:231]
	v_fma_f64 v[84:85], v[128:129], s[10:11], v[230:231]
	v_add_f64_e32 v[232:233], v[232:233], v[6:7]
	v_fma_f64 v[6:7], v[140:141], s[16:17], v[234:235]
	s_delay_alu instid0(VALU_DEP_3) | instskip(SKIP_2) | instid1(VALU_DEP_4)
	v_add_f64_e32 v[84:85], v[84:85], v[82:83]
	v_fma_f64 v[82:83], v[140:141], s[16:17], -v[234:235]
	v_mul_f64_e32 v[234:235], s[46:47], v[142:143]
	v_add_f64_e32 v[2:3], v[6:7], v[4:5]
	v_fma_f64 v[4:5], v[136:137], s[16:17], -v[236:237]
	v_mul_f64_e32 v[236:237], s[46:47], v[138:139]
	s_mov_b32 s47, 0x3fe0d888
	s_mov_b32 s46, s38
	s_wait_alu 0xfffe
	v_mul_f64_e32 v[44:45], s[46:47], v[122:123]
	s_delay_alu instid0(VALU_DEP_3) | instskip(SKIP_1) | instid1(VALU_DEP_3)
	v_add_f64_e32 v[0:1], v[4:5], v[232:233]
	v_mul_f64_e32 v[4:5], s[44:45], v[138:139]
	v_fma_f64 v[46:47], v[104:105], s[2:3], v[44:45]
	scratch_store_b128 off, v[0:3], off offset:196 ; 16-byte Folded Spill
	v_add_f64_e32 v[0:1], v[86:87], v[84:85]
	v_fma_f64 v[84:85], v[90:91], s[18:19], v[159:160]
	v_fma_f64 v[86:87], v[88:89], s[18:19], -v[161:162]
	v_fma_f64 v[159:160], v[90:91], s[18:19], -v[159:160]
	v_fma_f64 v[161:162], v[88:89], s[18:19], v[161:162]
	v_add_f64_e32 v[2:3], v[82:83], v[80:81]
	v_mul_f64_e32 v[80:81], s[30:31], v[142:143]
	v_fma_f64 v[82:83], v[92:93], s[10:11], v[8:9]
	v_add_f64_e32 v[84:85], v[84:85], v[167:168]
	v_add_f64_e32 v[86:87], v[86:87], v[195:196]
	;; [unrolled: 1-line block ×4, first 2 shown]
	scratch_store_b128 off, v[0:3], off offset:212 ; 16-byte Folded Spill
	v_mul_f64_e32 v[218:219], s[26:27], v[122:123]
	v_fma_f64 v[30:31], v[140:141], s[0:1], -v[80:81]
	v_add_f64_e32 v[84:85], v[165:166], v[84:85]
	v_mul_f64_e32 v[165:166], s[42:43], v[94:95]
	v_add_f64_e32 v[159:160], v[163:164], v[159:160]
	s_delay_alu instid0(VALU_DEP_2) | instskip(SKIP_2) | instid1(VALU_DEP_3)
	v_fma_f64 v[167:168], v[92:93], s[16:17], -v[165:166]
	v_fma_f64 v[163:164], v[92:93], s[16:17], v[165:166]
	v_fma_f64 v[165:166], v[136:137], s[10:11], v[236:237]
	v_add_f64_e32 v[86:87], v[167:168], v[86:87]
	v_mul_f64_e32 v[167:168], s[50:51], v[112:113]
	s_delay_alu instid0(VALU_DEP_4) | instskip(NEXT) | instid1(VALU_DEP_2)
	v_add_f64_e32 v[161:162], v[163:164], v[161:162]
	v_fma_f64 v[191:192], v[106:107], s[8:9], v[167:168]
	v_fma_f64 v[163:164], v[106:107], s[8:9], -v[167:168]
	s_delay_alu instid0(VALU_DEP_2) | instskip(SKIP_1) | instid1(VALU_DEP_3)
	v_add_f64_e32 v[84:85], v[191:192], v[84:85]
	v_mul_f64_e32 v[191:192], s[50:51], v[114:115]
	v_add_f64_e32 v[159:160], v[163:164], v[159:160]
	s_delay_alu instid0(VALU_DEP_2) | instskip(SKIP_2) | instid1(VALU_DEP_3)
	v_fma_f64 v[193:194], v[96:97], s[8:9], -v[191:192]
	v_fma_f64 v[163:164], v[96:97], s[8:9], v[191:192]
	v_mul_f64_e32 v[191:192], s[52:53], v[146:147]
	v_add_f64_e32 v[86:87], v[193:194], v[86:87]
	v_mul_f64_e32 v[193:194], s[28:29], v[120:121]
	s_delay_alu instid0(VALU_DEP_4) | instskip(NEXT) | instid1(VALU_DEP_2)
	v_add_f64_e32 v[161:162], v[163:164], v[161:162]
	v_fma_f64 v[195:196], v[118:119], s[22:23], v[193:194]
	v_fma_f64 v[163:164], v[118:119], s[22:23], -v[193:194]
	v_mul_f64_e32 v[193:194], s[52:53], v[110:111]
	s_delay_alu instid0(VALU_DEP_3) | instskip(SKIP_1) | instid1(VALU_DEP_4)
	v_add_f64_e32 v[84:85], v[195:196], v[84:85]
	v_mul_f64_e32 v[195:196], s[28:29], v[122:123]
	v_add_f64_e32 v[159:160], v[163:164], v[159:160]
	v_mul_f64_e32 v[122:123], s[30:31], v[122:123]
	s_delay_alu instid0(VALU_DEP_3) | instskip(SKIP_2) | instid1(VALU_DEP_3)
	v_fma_f64 v[212:213], v[104:105], s[22:23], -v[195:196]
	v_fma_f64 v[163:164], v[104:105], s[22:23], v[195:196]
	v_mul_f64_e32 v[195:196], s[28:29], v[108:109]
	v_add_f64_e32 v[86:87], v[212:213], v[86:87]
	v_mul_f64_e32 v[212:213], s[30:31], v[126:127]
	s_delay_alu instid0(VALU_DEP_4) | instskip(NEXT) | instid1(VALU_DEP_4)
	v_add_f64_e32 v[161:162], v[163:164], v[161:162]
	v_fma_f64 v[167:168], v[98:99], s[22:23], v[195:196]
	s_delay_alu instid0(VALU_DEP_3) | instskip(SKIP_2) | instid1(VALU_DEP_3)
	v_fma_f64 v[214:215], v[124:125], s[0:1], v[212:213]
	v_fma_f64 v[163:164], v[124:125], s[0:1], -v[212:213]
	v_mul_f64_e32 v[212:213], s[38:39], v[112:113]
	v_add_f64_e32 v[84:85], v[214:215], v[84:85]
	v_mul_f64_e32 v[214:215], s[30:31], v[144:145]
	s_delay_alu instid0(VALU_DEP_4) | instskip(NEXT) | instid1(VALU_DEP_2)
	v_add_f64_e32 v[159:160], v[163:164], v[159:160]
	v_fma_f64 v[216:217], v[116:117], s[0:1], -v[214:215]
	v_fma_f64 v[163:164], v[116:117], s[0:1], v[214:215]
	v_mul_f64_e32 v[214:215], s[38:39], v[114:115]
	scratch_load_b64 v[114:115], off, off offset:340 th:TH_LOAD_LU ; 8-byte Folded Reload
	v_add_f64_e32 v[86:87], v[216:217], v[86:87]
	v_mul_f64_e32 v[216:217], s[34:35], v[134:135]
	v_add_f64_e32 v[161:162], v[163:164], v[161:162]
	s_delay_alu instid0(VALU_DEP_2) | instskip(SKIP_2) | instid1(VALU_DEP_3)
	v_fma_f64 v[230:231], v[132:133], s[20:21], v[216:217]
	v_fma_f64 v[163:164], v[132:133], s[20:21], -v[216:217]
	v_mul_f64_e32 v[216:217], s[26:27], v[120:121]
	v_add_f64_e32 v[84:85], v[230:231], v[84:85]
	v_mul_f64_e32 v[230:231], s[34:35], v[130:131]
	s_delay_alu instid0(VALU_DEP_4) | instskip(NEXT) | instid1(VALU_DEP_2)
	v_add_f64_e32 v[159:160], v[163:164], v[159:160]
	v_fma_f64 v[232:233], v[128:129], s[20:21], -v[230:231]
	v_fma_f64 v[163:164], v[128:129], s[20:21], v[230:231]
	v_mul_f64_e32 v[230:231], s[48:49], v[126:127]
	s_delay_alu instid0(VALU_DEP_3) | instskip(SKIP_1) | instid1(VALU_DEP_4)
	v_add_f64_e32 v[232:233], v[232:233], v[86:87]
	v_fma_f64 v[86:87], v[140:141], s[10:11], v[234:235]
	v_add_f64_e32 v[163:164], v[163:164], v[161:162]
	v_fma_f64 v[161:162], v[140:141], s[10:11], -v[234:235]
	v_mul_f64_e32 v[234:235], s[30:31], v[134:135]
	s_delay_alu instid0(VALU_DEP_4) | instskip(SKIP_3) | instid1(VALU_DEP_3)
	v_add_f64_e32 v[2:3], v[86:87], v[84:85]
	v_fma_f64 v[84:85], v[136:137], s[10:11], -v[236:237]
	v_mul_f64_e32 v[236:237], s[30:31], v[130:131]
	v_fma_f64 v[86:87], v[96:97], s[22:23], v[12:13]
	v_add_f64_e32 v[0:1], v[84:85], v[232:233]
	v_mul_f64_e32 v[232:233], s[48:49], v[144:145]
	v_mul_f64_e32 v[84:85], s[38:39], v[130:131]
	;; [unrolled: 1-line block ×3, first 2 shown]
	scratch_store_b128 off, v[0:3], off offset:260 ; 16-byte Folded Spill
	v_add_f64_e32 v[0:1], v[165:166], v[163:164]
	v_fma_f64 v[163:164], v[90:91], s[10:11], v[191:192]
	v_fma_f64 v[165:166], v[88:89], s[10:11], -v[193:194]
	v_add_f64_e32 v[2:3], v[161:162], v[159:160]
	v_dual_mov_b32 v159, v244 :: v_dual_mov_b32 v160, v245
	v_dual_mov_b32 v161, v246 :: v_dual_mov_b32 v162, v247
	v_mul_f64_e32 v[244:245], s[42:43], v[112:113]
	v_mul_f64_e32 v[246:247], s[38:39], v[144:145]
	;; [unrolled: 1-line block ×3, first 2 shown]
	v_add_f64_e32 v[163:164], v[163:164], v[169:170]
	v_add_f64_e32 v[165:166], v[165:166], v[197:198]
	v_mul_f64_e32 v[197:198], s[28:29], v[94:95]
	scratch_store_b128 off, v[0:3], off offset:308 ; 16-byte Folded Spill
	v_mul_f64_e32 v[0:1], s[48:49], v[146:147]
	v_mul_f64_e32 v[2:3], s[38:39], v[138:139]
	v_add_f64_e32 v[163:164], v[167:168], v[163:164]
	v_fma_f64 v[167:168], v[92:93], s[22:23], -v[197:198]
	scratch_store_b64 off, v[0:1], off offset:352 ; 8-byte Folded Spill
	v_add_f64_e32 v[165:166], v[167:168], v[165:166]
	v_fma_f64 v[167:168], v[106:107], s[2:3], v[212:213]
	s_delay_alu instid0(VALU_DEP_1) | instskip(SKIP_1) | instid1(VALU_DEP_1)
	v_add_f64_e32 v[163:164], v[167:168], v[163:164]
	v_fma_f64 v[167:168], v[96:97], s[2:3], -v[214:215]
	v_add_f64_e32 v[165:166], v[167:168], v[165:166]
	v_fma_f64 v[167:168], v[118:119], s[16:17], v[216:217]
	s_delay_alu instid0(VALU_DEP_1) | instskip(SKIP_1) | instid1(VALU_DEP_1)
	v_add_f64_e32 v[163:164], v[167:168], v[163:164]
	v_fma_f64 v[167:168], v[104:105], s[16:17], -v[218:219]
	;; [unrolled: 5-line block ×4, first 2 shown]
	v_add_f64_e32 v[167:168], v[167:168], v[165:166]
	v_fma_f64 v[165:166], v[140:141], s[18:19], v[228:229]
	s_delay_alu instid0(VALU_DEP_1) | instskip(SKIP_2) | instid1(VALU_DEP_2)
	v_add_f64_e32 v[165:166], v[165:166], v[163:164]
	v_fma_f64 v[163:164], v[136:137], s[18:19], -v[4:5]
	v_fma_f64 v[4:5], v[136:137], s[18:19], v[4:5]
	v_add_f64_e32 v[163:164], v[163:164], v[167:168]
	v_fma_f64 v[167:168], v[90:91], s[20:21], -v[0:1]
	v_mul_f64_e32 v[0:1], s[48:49], v[110:111]
	s_delay_alu instid0(VALU_DEP_2) | instskip(SKIP_3) | instid1(VALU_DEP_2)
	v_add_f64_e32 v[167:168], v[167:168], v[173:174]
	scratch_store_b64 off, v[0:1], off offset:360 ; 8-byte Folded Spill
	v_fma_f64 v[169:170], v[88:89], s[20:21], v[0:1]
	v_mul_f64_e32 v[0:1], s[36:37], v[108:109]
	v_add_f64_e32 v[169:170], v[169:170], v[177:178]
	scratch_store_b64 off, v[0:1], off offset:368 ; 8-byte Folded Spill
	v_fma_f64 v[173:174], v[98:99], s[18:19], -v[0:1]
	v_mul_f64_e32 v[0:1], s[36:37], v[94:95]
	v_fma_f64 v[177:178], v[98:99], s[8:9], -v[14:15]
	s_delay_alu instid0(VALU_DEP_3) | instskip(NEXT) | instid1(VALU_DEP_3)
	v_add_f64_e32 v[167:168], v[173:174], v[167:168]
	v_fma_f64 v[173:174], v[92:93], s[18:19], v[0:1]
	scratch_store_b64 off, v[0:1], off offset:376 ; 8-byte Folded Spill
	v_mul_f64_e32 v[0:1], s[30:31], v[110:111]
	v_add_f64_e32 v[169:170], v[173:174], v[169:170]
	v_fma_f64 v[173:174], v[106:107], s[16:17], -v[244:245]
	s_delay_alu instid0(VALU_DEP_3) | instskip(SKIP_1) | instid1(VALU_DEP_3)
	v_fma_f64 v[6:7], v[88:89], s[0:1], v[0:1]
	v_fma_f64 v[0:1], v[88:89], s[0:1], -v[0:1]
	v_add_f64_e32 v[167:168], v[173:174], v[167:168]
	v_fma_f64 v[173:174], v[96:97], s[16:17], v[199:200]
	s_delay_alu instid0(VALU_DEP_4) | instskip(SKIP_1) | instid1(VALU_DEP_3)
	v_add_f64_e32 v[6:7], v[6:7], v[187:188]
	v_mul_f64_e32 v[187:188], s[52:53], v[108:109]
	v_add_f64_e32 v[169:170], v[173:174], v[169:170]
	v_fma_f64 v[173:174], v[118:119], s[10:11], -v[254:255]
	s_delay_alu instid0(VALU_DEP_4) | instskip(SKIP_1) | instid1(VALU_DEP_3)
	v_add_f64_e32 v[6:7], v[82:83], v[6:7]
	v_mul_f64_e32 v[82:83], s[40:41], v[112:113]
	v_add_f64_e32 v[167:168], v[173:174], v[167:168]
	v_fma_f64 v[173:174], v[104:105], s[10:11], v[248:249]
	s_delay_alu instid0(VALU_DEP_4) | instskip(SKIP_1) | instid1(VALU_DEP_3)
	v_add_f64_e32 v[6:7], v[86:87], v[6:7]
	v_mul_f64_e32 v[86:87], s[36:37], v[120:121]
	v_add_f64_e32 v[169:170], v[173:174], v[169:170]
	v_fma_f64 v[173:174], v[124:125], s[8:9], -v[189:190]
	s_delay_alu instid0(VALU_DEP_4) | instskip(SKIP_1) | instid1(VALU_DEP_3)
	v_add_f64_e32 v[6:7], v[102:103], v[6:7]
	v_mul_f64_e32 v[102:103], s[38:39], v[126:127]
	v_add_f64_e32 v[167:168], v[173:174], v[167:168]
	v_fma_f64 v[173:174], v[116:117], s[8:9], v[150:151]
	s_delay_alu instid0(VALU_DEP_1) | instskip(SKIP_1) | instid1(VALU_DEP_1)
	v_add_f64_e32 v[169:170], v[173:174], v[169:170]
	v_fma_f64 v[173:174], v[132:133], s[2:3], -v[100:101]
	v_add_f64_e32 v[167:168], v[173:174], v[167:168]
	v_fma_f64 v[173:174], v[128:129], s[2:3], v[84:85]
	s_delay_alu instid0(VALU_DEP_1) | instskip(NEXT) | instid1(VALU_DEP_3)
	v_add_f64_e32 v[173:174], v[173:174], v[169:170]
	v_add_f64_e32 v[169:170], v[30:31], v[167:168]
	v_mul_f64_e32 v[30:31], s[30:31], v[138:139]
	s_delay_alu instid0(VALU_DEP_1) | instskip(NEXT) | instid1(VALU_DEP_1)
	v_fma_f64 v[167:168], v[136:137], s[0:1], v[30:31]
	v_add_f64_e32 v[167:168], v[167:168], v[173:174]
	v_fma_f64 v[173:174], v[90:91], s[16:17], -v[28:29]
	s_delay_alu instid0(VALU_DEP_1) | instskip(SKIP_1) | instid1(VALU_DEP_2)
	v_add_f64_e32 v[171:172], v[173:174], v[171:172]
	v_fma_f64 v[173:174], v[88:89], s[16:17], v[24:25]
	v_add_f64_e32 v[171:172], v[177:178], v[171:172]
	s_delay_alu instid0(VALU_DEP_2) | instskip(NEXT) | instid1(VALU_DEP_2)
	v_add_f64_e32 v[173:174], v[173:174], v[179:180]
	v_add_f64_e32 v[38:39], v[38:39], v[171:172]
	s_delay_alu instid0(VALU_DEP_2) | instskip(NEXT) | instid1(VALU_DEP_1)
	v_add_f64_e32 v[34:35], v[34:35], v[173:174]
	v_add_f64_e32 v[34:35], v[42:43], v[34:35]
	v_mul_f64_e32 v[42:43], s[46:47], v[120:121]
	s_delay_alu instid0(VALU_DEP_2) | instskip(NEXT) | instid1(VALU_DEP_2)
	v_add_f64_e32 v[34:35], v[46:47], v[34:35]
	v_fma_f64 v[171:172], v[118:119], s[2:3], -v[42:43]
	v_mul_f64_e32 v[46:47], s[52:53], v[126:127]
	s_delay_alu instid0(VALU_DEP_3) | instskip(NEXT) | instid1(VALU_DEP_3)
	v_add_f64_e32 v[34:35], v[50:51], v[34:35]
	v_add_f64_e32 v[38:39], v[171:172], v[38:39]
	s_delay_alu instid0(VALU_DEP_3)
	v_fma_f64 v[171:172], v[124:125], s[10:11], -v[46:47]
	v_mul_f64_e32 v[50:51], s[44:45], v[134:135]
	s_mov_b32 s45, 0x3fc7851a
	s_mov_b32 s44, s30
	s_wait_alu 0xfffe
	v_mul_f64_e32 v[60:61], s[44:45], v[94:95]
	v_mul_f64_e32 v[203:204], s[44:45], v[108:109]
	;; [unrolled: 1-line block ×3, first 2 shown]
	v_add_f64_e32 v[34:35], v[54:55], v[34:35]
	v_mul_f64_e32 v[54:55], s[40:41], v[142:143]
	v_add_f64_e32 v[38:39], v[171:172], v[38:39]
	v_fma_f64 v[171:172], v[132:133], s[18:19], -v[50:51]
	v_fma_f64 v[62:63], v[92:93], s[0:1], v[60:61]
	s_delay_alu instid0(VALU_DEP_2) | instskip(SKIP_1) | instid1(VALU_DEP_3)
	v_add_f64_e32 v[38:39], v[171:172], v[38:39]
	v_fma_f64 v[171:172], v[140:141], s[22:23], -v[54:55]
	v_add_f64_e32 v[58:59], v[62:63], v[58:59]
	v_mul_f64_e32 v[62:63], s[52:53], v[112:113]
	s_delay_alu instid0(VALU_DEP_3) | instskip(SKIP_1) | instid1(VALU_DEP_4)
	v_add_f64_e32 v[173:174], v[171:172], v[38:39]
	v_mul_f64_e32 v[38:39], s[40:41], v[138:139]
	v_add_f64_e32 v[58:59], v[66:67], v[58:59]
	v_mul_f64_e32 v[66:67], s[34:35], v[120:121]
	v_mul_f64_e32 v[120:121], s[30:31], v[120:121]
	s_delay_alu instid0(VALU_DEP_4) | instskip(NEXT) | instid1(VALU_DEP_4)
	v_fma_f64 v[171:172], v[136:137], s[22:23], v[38:39]
	v_add_f64_e32 v[58:59], v[70:71], v[58:59]
	v_mul_f64_e32 v[70:71], s[28:29], v[126:127]
	v_mul_f64_e32 v[126:127], s[26:27], v[126:127]
	s_delay_alu instid0(VALU_DEP_4) | instskip(SKIP_4) | instid1(VALU_DEP_4)
	v_add_f64_e32 v[171:172], v[171:172], v[34:35]
	v_mul_f64_e32 v[34:35], s[24:25], v[146:147]
	v_add_f64_e32 v[58:59], v[74:75], v[58:59]
	v_mul_f64_e32 v[74:75], s[42:43], v[134:135]
	v_mul_f64_e32 v[134:135], s[28:29], v[134:135]
	v_fma_f64 v[177:178], v[90:91], s[8:9], -v[34:35]
	s_delay_alu instid0(VALU_DEP_4) | instskip(SKIP_2) | instid1(VALU_DEP_4)
	v_add_f64_e32 v[58:59], v[78:79], v[58:59]
	v_mul_f64_e32 v[78:79], s[38:39], v[142:143]
	v_mul_f64_e32 v[142:143], s[24:25], v[142:143]
	v_add_f64_e32 v[175:176], v[177:178], v[175:176]
	v_fma_f64 v[177:178], v[98:99], s[0:1], -v[203:204]
	s_delay_alu instid0(VALU_DEP_1) | instskip(SKIP_1) | instid1(VALU_DEP_1)
	v_add_f64_e32 v[175:176], v[177:178], v[175:176]
	v_fma_f64 v[177:178], v[106:107], s[10:11], -v[62:63]
	v_add_f64_e32 v[175:176], v[177:178], v[175:176]
	v_fma_f64 v[177:178], v[118:119], s[20:21], -v[66:67]
	s_delay_alu instid0(VALU_DEP_1) | instskip(SKIP_1) | instid1(VALU_DEP_1)
	v_add_f64_e32 v[175:176], v[177:178], v[175:176]
	v_fma_f64 v[177:178], v[124:125], s[22:23], -v[70:71]
	;; [unrolled: 5-line block ×3, first 2 shown]
	v_add_f64_e32 v[177:178], v[177:178], v[175:176]
	v_fma_f64 v[175:176], v[136:137], s[2:3], v[2:3]
	v_fma_f64 v[2:3], v[136:137], s[2:3], -v[2:3]
	s_delay_alu instid0(VALU_DEP_2) | instskip(SKIP_1) | instid1(VALU_DEP_1)
	v_add_f64_e32 v[175:176], v[175:176], v[58:59]
	v_mul_f64_e32 v[58:59], s[30:31], v[146:147]
	v_fma_f64 v[179:180], v[90:91], s[0:1], -v[58:59]
	s_delay_alu instid0(VALU_DEP_1) | instskip(SKIP_1) | instid1(VALU_DEP_1)
	v_add_f64_e32 v[26:27], v[179:180], v[26:27]
	v_fma_f64 v[179:180], v[98:99], s[10:11], -v[187:188]
	v_add_f64_e32 v[26:27], v[179:180], v[26:27]
	v_fma_f64 v[179:180], v[106:107], s[22:23], -v[82:83]
	s_delay_alu instid0(VALU_DEP_1) | instskip(SKIP_1) | instid1(VALU_DEP_1)
	v_add_f64_e32 v[26:27], v[179:180], v[26:27]
	v_fma_f64 v[179:180], v[118:119], s[18:19], -v[86:87]
	v_add_f64_e32 v[26:27], v[179:180], v[26:27]
	v_fma_f64 v[179:180], v[124:125], s[2:3], -v[102:103]
	s_delay_alu instid0(VALU_DEP_1) | instskip(SKIP_1) | instid1(VALU_DEP_1)
	v_add_f64_e32 v[26:27], v[179:180], v[26:27]
	v_fma_f64 v[179:180], v[116:117], s[2:3], v[246:247]
	v_add_f64_e32 v[6:7], v[179:180], v[6:7]
	v_fma_f64 v[179:180], v[132:133], s[8:9], -v[205:206]
	s_delay_alu instid0(VALU_DEP_1) | instskip(SKIP_1) | instid1(VALU_DEP_1)
	v_add_f64_e32 v[26:27], v[179:180], v[26:27]
	v_fma_f64 v[179:180], v[128:129], s[8:9], v[224:225]
	v_add_f64_e32 v[6:7], v[179:180], v[6:7]
	v_fma_f64 v[179:180], v[140:141], s[20:21], -v[201:202]
	s_delay_alu instid0(VALU_DEP_1) | instskip(SKIP_2) | instid1(VALU_DEP_2)
	v_add_f64_e32 v[181:182], v[179:180], v[26:27]
	v_mul_f64_e32 v[26:27], s[34:35], v[138:139]
	v_mul_f64_e32 v[138:139], s[24:25], v[138:139]
	v_fma_f64 v[179:180], v[136:137], s[20:21], v[26:27]
	s_delay_alu instid0(VALU_DEP_1) | instskip(SKIP_1) | instid1(VALU_DEP_1)
	v_add_f64_e32 v[179:180], v[179:180], v[6:7]
	v_mul_f64_e32 v[6:7], s[46:47], v[146:147]
	v_fma_f64 v[146:147], v[90:91], s[2:3], -v[6:7]
	s_delay_alu instid0(VALU_DEP_1) | instskip(SKIP_1) | instid1(VALU_DEP_1)
	v_add_f64_e32 v[146:147], v[146:147], v[148:149]
	v_mul_f64_e32 v[148:149], s[46:47], v[110:111]
	v_fma_f64 v[110:111], v[88:89], s[2:3], v[148:149]
	s_delay_alu instid0(VALU_DEP_1) | instskip(SKIP_1) | instid1(VALU_DEP_1)
	v_add_f64_e32 v[110:111], v[110:111], v[185:186]
	v_mul_f64_e32 v[185:186], s[34:35], v[108:109]
	v_fma_f64 v[108:109], v[98:99], s[20:21], -v[185:186]
	s_delay_alu instid0(VALU_DEP_1) | instskip(SKIP_2) | instid1(VALU_DEP_2)
	v_add_f64_e32 v[108:109], v[108:109], v[146:147]
	v_fma_f64 v[146:147], v[92:93], s[20:21], v[94:95]
	v_fma_f64 v[94:95], v[92:93], s[20:21], -v[94:95]
	v_add_f64_e32 v[110:111], v[146:147], v[110:111]
	v_mul_f64_e32 v[146:147], s[36:37], v[112:113]
	s_delay_alu instid0(VALU_DEP_1) | instskip(NEXT) | instid1(VALU_DEP_1)
	v_fma_f64 v[112:113], v[106:107], s[18:19], -v[146:147]
	v_add_f64_e32 v[108:109], v[112:113], v[108:109]
	v_fma_f64 v[112:113], v[96:97], s[18:19], v[226:227]
	s_delay_alu instid0(VALU_DEP_1) | instskip(SKIP_1) | instid1(VALU_DEP_1)
	v_add_f64_e32 v[110:111], v[112:113], v[110:111]
	v_fma_f64 v[112:113], v[118:119], s[0:1], -v[120:121]
	v_add_f64_e32 v[108:109], v[112:113], v[108:109]
	v_fma_f64 v[112:113], v[104:105], s[0:1], v[122:123]
	s_delay_alu instid0(VALU_DEP_1) | instskip(SKIP_1) | instid1(VALU_DEP_1)
	v_add_f64_e32 v[110:111], v[112:113], v[110:111]
	;; [unrolled: 5-line block ×4, first 2 shown]
	v_fma_f64 v[110:111], v[140:141], s[8:9], -v[142:143]
	v_add_f64_e32 v[110:111], v[110:111], v[108:109]
	v_fma_f64 v[108:109], v[136:137], s[8:9], v[138:139]
	s_delay_alu instid0(VALU_DEP_1) | instskip(SKIP_2) | instid1(VALU_DEP_1)
	v_add_f64_e32 v[108:109], v[108:109], v[112:113]
	v_fma_f64 v[112:113], v[90:91], s[10:11], -v[191:192]
	s_wait_loadcnt 0x0
	v_add_f64_e32 v[112:113], v[112:113], v[114:115]
	v_fma_f64 v[114:115], v[88:89], s[10:11], v[193:194]
	s_delay_alu instid0(VALU_DEP_1) | instskip(SKIP_1) | instid1(VALU_DEP_1)
	v_add_f64_e32 v[114:115], v[114:115], v[183:184]
	v_fma_f64 v[183:184], v[98:99], s[22:23], -v[195:196]
	v_add_f64_e32 v[112:113], v[183:184], v[112:113]
	v_fma_f64 v[183:184], v[92:93], s[22:23], v[197:198]
	s_delay_alu instid0(VALU_DEP_1) | instskip(SKIP_1) | instid1(VALU_DEP_1)
	v_add_f64_e32 v[114:115], v[183:184], v[114:115]
	v_fma_f64 v[183:184], v[106:107], s[2:3], -v[212:213]
	;; [unrolled: 5-line block ×4, first 2 shown]
	v_add_f64_e32 v[112:113], v[183:184], v[112:113]
	v_fma_f64 v[183:184], v[116:117], s[20:21], v[232:233]
	s_delay_alu instid0(VALU_DEP_1) | instskip(SKIP_3) | instid1(VALU_DEP_3)
	v_add_f64_e32 v[114:115], v[183:184], v[114:115]
	v_fma_f64 v[183:184], v[132:133], s[0:1], -v[234:235]
	v_dual_mov_b32 v235, v210 :: v_dual_mov_b32 v234, v209
	v_dual_mov_b32 v233, v208 :: v_dual_mov_b32 v232, v207
	v_add_f64_e32 v[112:113], v[183:184], v[112:113]
	v_fma_f64 v[183:184], v[128:129], s[0:1], v[236:237]
	s_delay_alu instid0(VALU_DEP_1) | instskip(SKIP_3) | instid1(VALU_DEP_3)
	v_add_f64_e32 v[183:184], v[183:184], v[114:115]
	v_fma_f64 v[114:115], v[140:141], s[18:19], -v[228:229]
	v_dual_mov_b32 v231, v223 :: v_dual_mov_b32 v230, v222
	v_dual_mov_b32 v229, v221 :: v_dual_mov_b32 v228, v220
	v_add_f64_e32 v[114:115], v[114:115], v[112:113]
	v_add_f64_e32 v[112:113], v[4:5], v[183:184]
	v_fma_f64 v[4:5], v[90:91], s[2:3], v[6:7]
	scratch_load_b64 v[6:7], off, off offset:332 th:TH_LOAD_LU ; 8-byte Folded Reload
	s_wait_loadcnt 0x0
	v_add_f64_e32 v[4:5], v[4:5], v[6:7]
	v_fma_f64 v[6:7], v[88:89], s[2:3], -v[148:149]
	scratch_load_b64 v[148:149], off, off offset:324 th:TH_LOAD_LU ; 8-byte Folded Reload
	s_wait_loadcnt 0x0
	v_add_f64_e32 v[6:7], v[6:7], v[148:149]
	v_fma_f64 v[148:149], v[98:99], s[20:21], v[185:186]
	s_delay_alu instid0(VALU_DEP_2) | instskip(NEXT) | instid1(VALU_DEP_2)
	v_add_f64_e32 v[6:7], v[94:95], v[6:7]
	v_add_f64_e32 v[4:5], v[148:149], v[4:5]
	v_fma_f64 v[94:95], v[106:107], s[18:19], v[146:147]
	s_delay_alu instid0(VALU_DEP_1) | instskip(SKIP_1) | instid1(VALU_DEP_1)
	v_add_f64_e32 v[4:5], v[94:95], v[4:5]
	v_fma_f64 v[94:95], v[96:97], s[18:19], -v[226:227]
	v_add_f64_e32 v[6:7], v[94:95], v[6:7]
	v_fma_f64 v[94:95], v[118:119], s[0:1], v[120:121]
	v_fma_f64 v[120:121], v[136:137], s[8:9], -v[138:139]
	s_delay_alu instid0(VALU_DEP_2) | instskip(SKIP_1) | instid1(VALU_DEP_1)
	v_add_f64_e32 v[4:5], v[94:95], v[4:5]
	v_fma_f64 v[94:95], v[104:105], s[0:1], -v[122:123]
	v_add_f64_e32 v[6:7], v[94:95], v[6:7]
	v_fma_f64 v[94:95], v[124:125], s[16:17], v[126:127]
	s_delay_alu instid0(VALU_DEP_1) | instskip(SKIP_1) | instid1(VALU_DEP_1)
	v_add_f64_e32 v[4:5], v[94:95], v[4:5]
	v_fma_f64 v[94:95], v[116:117], s[16:17], -v[144:145]
	v_add_f64_e32 v[6:7], v[94:95], v[6:7]
	v_fma_f64 v[94:95], v[132:133], s[22:23], v[134:135]
	s_delay_alu instid0(VALU_DEP_1) | instskip(SKIP_1) | instid1(VALU_DEP_1)
	v_add_f64_e32 v[4:5], v[94:95], v[4:5]
	v_fma_f64 v[94:95], v[128:129], s[22:23], -v[130:131]
	v_add_f64_e32 v[6:7], v[94:95], v[6:7]
	v_fma_f64 v[94:95], v[140:141], s[8:9], v[142:143]
	s_delay_alu instid0(VALU_DEP_2) | instskip(SKIP_4) | instid1(VALU_DEP_1)
	v_add_f64_e32 v[120:121], v[120:121], v[6:7]
	scratch_load_b64 v[6:7], off, off offset:300 th:TH_LOAD_LU ; 8-byte Folded Reload
	v_add_f64_e32 v[122:123], v[94:95], v[4:5]
	v_fma_f64 v[4:5], v[90:91], s[0:1], v[58:59]
	s_wait_loadcnt 0x0
	v_add_f64_e32 v[4:5], v[4:5], v[6:7]
	v_fma_f64 v[6:7], v[98:99], s[10:11], v[187:188]
	s_delay_alu instid0(VALU_DEP_1) | instskip(SKIP_1) | instid1(VALU_DEP_1)
	v_add_f64_e32 v[4:5], v[6:7], v[4:5]
	v_fma_f64 v[6:7], v[106:107], s[22:23], v[82:83]
	v_add_f64_e32 v[4:5], v[6:7], v[4:5]
	v_fma_f64 v[6:7], v[118:119], s[18:19], v[86:87]
	s_delay_alu instid0(VALU_DEP_1) | instskip(SKIP_1) | instid1(VALU_DEP_1)
	v_add_f64_e32 v[4:5], v[6:7], v[4:5]
	v_fma_f64 v[6:7], v[124:125], s[2:3], v[102:103]
	v_add_f64_e32 v[4:5], v[6:7], v[4:5]
	scratch_load_b64 v[6:7], off, off offset:292 th:TH_LOAD_LU ; 8-byte Folded Reload
	s_wait_loadcnt 0x0
	v_add_f64_e32 v[0:1], v[0:1], v[6:7]
	v_fma_f64 v[6:7], v[92:93], s[10:11], -v[8:9]
	v_fma_f64 v[8:9], v[136:137], s[20:21], -v[26:27]
	s_delay_alu instid0(VALU_DEP_2) | instskip(SKIP_1) | instid1(VALU_DEP_1)
	v_add_f64_e32 v[0:1], v[6:7], v[0:1]
	v_fma_f64 v[6:7], v[96:97], s[22:23], -v[12:13]
	v_add_f64_e32 v[0:1], v[6:7], v[0:1]
	v_fma_f64 v[6:7], v[104:105], s[18:19], -v[242:243]
	s_delay_alu instid0(VALU_DEP_1) | instskip(SKIP_1) | instid1(VALU_DEP_1)
	v_add_f64_e32 v[0:1], v[6:7], v[0:1]
	v_fma_f64 v[6:7], v[116:117], s[2:3], -v[246:247]
	v_add_f64_e32 v[0:1], v[6:7], v[0:1]
	v_fma_f64 v[6:7], v[132:133], s[8:9], v[205:206]
	v_dual_mov_b32 v205, v211 :: v_dual_mov_b32 v206, v10
	s_delay_alu instid0(VALU_DEP_2)
	v_add_f64_e32 v[4:5], v[6:7], v[4:5]
	v_fma_f64 v[6:7], v[128:129], s[8:9], -v[224:225]
	v_dual_mov_b32 v224, v238 :: v_dual_mov_b32 v225, v239
	v_dual_mov_b32 v226, v240 :: v_dual_mov_b32 v227, v241
	;; [unrolled: 1-line block ×4, first 2 shown]
	v_mov_b32_e32 v250, v11
	scratch_load_b128 v[236:239], off, off offset:144 ; 16-byte Folded Reload
	v_mov_b32_e32 v251, v152
	scratch_load_b32 v152, off, off offset:160 ; 4-byte Folded Reload
	v_add_f64_e32 v[0:1], v[6:7], v[0:1]
	v_fma_f64 v[6:7], v[140:141], s[20:21], v[201:202]
	s_delay_alu instid0(VALU_DEP_2) | instskip(NEXT) | instid1(VALU_DEP_2)
	v_add_f64_e32 v[142:143], v[8:9], v[0:1]
	v_add_f64_e32 v[144:145], v[6:7], v[4:5]
	s_clause 0x1
	scratch_load_b64 v[4:5], off, off offset:284 th:TH_LOAD_LU
	scratch_load_b64 v[6:7], off, off offset:276 th:TH_LOAD_LU
	v_fma_f64 v[0:1], v[90:91], s[8:9], v[34:35]
	scratch_load_b64 v[8:9], off, off offset:228 th:TH_LOAD_LU ; 8-byte Folded Reload
	s_wait_loadcnt 0x2
	v_add_f64_e32 v[0:1], v[0:1], v[4:5]
	v_fma_f64 v[4:5], v[88:89], s[8:9], -v[56:57]
	s_wait_loadcnt 0x1
	s_delay_alu instid0(VALU_DEP_1) | instskip(SKIP_1) | instid1(VALU_DEP_1)
	v_add_f64_e32 v[4:5], v[4:5], v[6:7]
	v_fma_f64 v[6:7], v[98:99], s[0:1], v[203:204]
	v_add_f64_e32 v[0:1], v[6:7], v[0:1]
	v_fma_f64 v[6:7], v[92:93], s[0:1], -v[60:61]
	s_delay_alu instid0(VALU_DEP_1) | instskip(SKIP_1) | instid1(VALU_DEP_1)
	v_add_f64_e32 v[4:5], v[6:7], v[4:5]
	v_fma_f64 v[6:7], v[106:107], s[10:11], v[62:63]
	v_add_f64_e32 v[0:1], v[6:7], v[0:1]
	v_fma_f64 v[6:7], v[96:97], s[10:11], -v[64:65]
	;; [unrolled: 5-line block ×5, first 2 shown]
	s_delay_alu instid0(VALU_DEP_1) | instskip(SKIP_1) | instid1(VALU_DEP_2)
	v_add_f64_e32 v[4:5], v[6:7], v[4:5]
	v_fma_f64 v[6:7], v[140:141], s[2:3], v[78:79]
	v_add_f64_e32 v[183:184], v[2:3], v[4:5]
	s_clause 0x1
	scratch_load_b64 v[2:3], off, off offset:252 th:TH_LOAD_LU
	scratch_load_b64 v[4:5], off, off offset:244 th:TH_LOAD_LU
	v_add_f64_e32 v[185:186], v[6:7], v[0:1]
	v_fma_f64 v[0:1], v[90:91], s[16:17], v[28:29]
	v_fma_f64 v[6:7], v[136:137], s[22:23], -v[38:39]
	s_wait_loadcnt 0x1
	s_delay_alu instid0(VALU_DEP_2) | instskip(SKIP_2) | instid1(VALU_DEP_1)
	v_add_f64_e32 v[0:1], v[0:1], v[2:3]
	v_fma_f64 v[2:3], v[88:89], s[16:17], -v[24:25]
	s_wait_loadcnt 0x0
	v_add_f64_e32 v[2:3], v[2:3], v[4:5]
	v_fma_f64 v[4:5], v[98:99], s[8:9], v[14:15]
	s_delay_alu instid0(VALU_DEP_1) | instskip(SKIP_1) | instid1(VALU_DEP_1)
	v_add_f64_e32 v[0:1], v[4:5], v[0:1]
	v_fma_f64 v[4:5], v[92:93], s[8:9], -v[32:33]
	v_add_f64_e32 v[2:3], v[4:5], v[2:3]
	v_fma_f64 v[4:5], v[106:107], s[0:1], v[36:37]
	s_delay_alu instid0(VALU_DEP_1) | instskip(SKIP_1) | instid1(VALU_DEP_1)
	v_add_f64_e32 v[0:1], v[4:5], v[0:1]
	v_fma_f64 v[4:5], v[96:97], s[0:1], -v[40:41]
	v_add_f64_e32 v[2:3], v[4:5], v[2:3]
	v_fma_f64 v[4:5], v[118:119], s[2:3], v[42:43]
	s_delay_alu instid0(VALU_DEP_1) | instskip(SKIP_1) | instid1(VALU_DEP_1)
	v_add_f64_e32 v[0:1], v[4:5], v[0:1]
	v_fma_f64 v[4:5], v[104:105], s[2:3], -v[44:45]
	v_add_f64_e32 v[2:3], v[4:5], v[2:3]
	v_fma_f64 v[4:5], v[124:125], s[10:11], v[46:47]
	s_delay_alu instid0(VALU_DEP_1) | instskip(SKIP_1) | instid1(VALU_DEP_1)
	v_add_f64_e32 v[0:1], v[4:5], v[0:1]
	v_fma_f64 v[4:5], v[116:117], s[10:11], -v[48:49]
	v_add_f64_e32 v[2:3], v[4:5], v[2:3]
	v_fma_f64 v[4:5], v[132:133], s[18:19], v[50:51]
	s_delay_alu instid0(VALU_DEP_1) | instskip(SKIP_1) | instid1(VALU_DEP_1)
	v_add_f64_e32 v[0:1], v[4:5], v[0:1]
	v_fma_f64 v[4:5], v[128:129], s[18:19], -v[52:53]
	v_add_f64_e32 v[2:3], v[4:5], v[2:3]
	v_fma_f64 v[4:5], v[140:141], s[22:23], v[54:55]
	s_delay_alu instid0(VALU_DEP_2) | instskip(NEXT) | instid1(VALU_DEP_2)
	v_add_f64_e32 v[146:147], v[6:7], v[2:3]
	v_add_f64_e32 v[148:149], v[4:5], v[0:1]
	s_clause 0x3
	scratch_load_b64 v[0:1], off, off offset:352 th:TH_LOAD_LU
	scratch_load_b64 v[2:3], off, off offset:360 th:TH_LOAD_LU
	;; [unrolled: 1-line block ×4, first 2 shown]
	s_wait_loadcnt 0x3
	v_fma_f64 v[0:1], v[90:91], s[20:21], v[0:1]
	s_wait_loadcnt 0x2
	v_fma_f64 v[2:3], v[88:89], s[20:21], -v[2:3]
	s_wait_loadcnt 0x1
	s_delay_alu instid0(VALU_DEP_2)
	v_add_f64_e32 v[0:1], v[0:1], v[6:7]
	scratch_load_b64 v[6:7], off, off offset:376 th:TH_LOAD_LU ; 8-byte Folded Reload
	s_wait_loadcnt 0x1
	v_fma_f64 v[4:5], v[98:99], s[18:19], v[4:5]
	v_add_f64_e32 v[2:3], v[2:3], v[8:9]
	v_fma_f64 v[8:9], v[106:107], s[16:17], v[244:245]
	v_dual_mov_b32 v247, v162 :: v_dual_mov_b32 v246, v161
	v_dual_mov_b32 v245, v160 :: v_dual_mov_b32 v244, v159
	v_add_f64_e32 v[0:1], v[4:5], v[0:1]
	v_fma_f64 v[4:5], v[96:97], s[16:17], -v[199:200]
	s_delay_alu instid0(VALU_DEP_2) | instskip(SKIP_3) | instid1(VALU_DEP_1)
	v_add_f64_e32 v[0:1], v[8:9], v[0:1]
	v_fma_f64 v[8:9], v[104:105], s[10:11], -v[248:249]
	s_wait_loadcnt 0x0
	v_fma_f64 v[6:7], v[92:93], s[18:19], -v[6:7]
	v_add_f64_e32 v[2:3], v[6:7], v[2:3]
	v_fma_f64 v[6:7], v[118:119], s[10:11], v[254:255]
	v_dual_mov_b32 v255, v158 :: v_dual_mov_b32 v254, v157
	v_dual_mov_b32 v253, v156 :: v_dual_mov_b32 v252, v155
	scratch_load_b32 v155, off, off offset:164 ; 4-byte Folded Reload
	v_add_f64_e32 v[2:3], v[4:5], v[2:3]
	v_fma_f64 v[4:5], v[124:125], s[8:9], v[189:190]
	v_add_f64_e32 v[0:1], v[6:7], v[0:1]
	v_fma_f64 v[6:7], v[116:117], s[8:9], -v[150:151]
	scratch_load_b32 v150, off, off offset:176 ; 4-byte Folded Reload
	v_add_f64_e32 v[2:3], v[8:9], v[2:3]
	v_fma_f64 v[8:9], v[132:133], s[2:3], v[100:101]
	v_add_f64_e32 v[0:1], v[4:5], v[0:1]
	v_fma_f64 v[4:5], v[128:129], s[2:3], -v[84:85]
	s_delay_alu instid0(VALU_DEP_4) | instskip(SKIP_1) | instid1(VALU_DEP_4)
	v_add_f64_e32 v[2:3], v[6:7], v[2:3]
	v_fma_f64 v[6:7], v[140:141], s[0:1], v[80:81]
	v_add_f64_e32 v[0:1], v[8:9], v[0:1]
	v_fma_f64 v[8:9], v[136:137], s[0:1], -v[30:31]
	s_delay_alu instid0(VALU_DEP_4) | instskip(NEXT) | instid1(VALU_DEP_3)
	v_add_f64_e32 v[2:3], v[4:5], v[2:3]
	v_add_f64_e32 v[90:91], v[6:7], v[0:1]
	scratch_load_b32 v1, off, off offset:348 th:TH_LOAD_LU ; 4-byte Folded Reload
	v_mul_lo_u16 v0, v250, 17
	s_delay_alu instid0(VALU_DEP_1) | instskip(SKIP_2) | instid1(VALU_DEP_2)
	v_and_b32_e32 v0, 0xffff, v0
	v_add_f64_e32 v[88:89], v[8:9], v[2:3]
	s_wait_loadcnt 0x0
	v_lshl_add_u32 v0, v0, 4, v1
	scratch_load_b128 v[1:4], off, off offset:180 th:TH_LOAD_LU ; 16-byte Folded Reload
	s_wait_loadcnt 0x0
	ds_store_b128 v0, v[1:4]
	ds_store_b128 v0, v[167:170] offset:16
	ds_store_b128 v0, v[171:174] offset:32
	;; [unrolled: 1-line block ×6, first 2 shown]
	scratch_load_b128 v[1:4], off, off offset:308 th:TH_LOAD_LU ; 16-byte Folded Reload
	s_wait_loadcnt 0x0
	ds_store_b128 v0, v[1:4] offset:112
	scratch_load_b128 v[1:4], off, off offset:212 th:TH_LOAD_LU ; 16-byte Folded Reload
	s_wait_loadcnt 0x0
	ds_store_b128 v0, v[1:4] offset:128
	;; [unrolled: 3-line block ×4, first 2 shown]
	ds_store_b128 v0, v[163:166] offset:176
	ds_store_b128 v0, v[120:123] offset:192
	;; [unrolled: 1-line block ×5, first 2 shown]
	s_clause 0x1
	scratch_load_b32 v149, off, off offset:172
	scratch_load_b32 v148, off, off offset:168
	ds_store_b128 v0, v[88:91] offset:256
.LBB0_13:
	s_or_b32 exec_lo, exec_lo, s33
	global_wb scope:SCOPE_SE
	s_wait_storecnt 0x0
	s_wait_loadcnt_dscnt 0x0
	s_barrier_signal -1
	s_barrier_wait -1
	global_inv scope:SCOPE_SE
	ds_load_b128 v[0:3], v153 offset:816
	ds_load_b128 v[4:7], v153 offset:1632
	;; [unrolled: 1-line block ×13, first 2 shown]
	s_mov_b32 s8, 0x134454ff
	s_mov_b32 s9, 0xbfee6f0e
	;; [unrolled: 1-line block ×3, first 2 shown]
	s_wait_alu 0xfffe
	s_mov_b32 s10, s8
	s_mov_b32 s0, 0x4755a5e
	;; [unrolled: 1-line block ×4, first 2 shown]
	s_wait_dscnt 0xc
	v_mul_f64_e32 v[8:9], v[22:23], v[2:3]
	s_wait_dscnt 0xb
	v_mul_f64_e32 v[12:13], v[230:231], v[6:7]
	;; [unrolled: 2-line block ×3, first 2 shown]
	v_mul_f64_e32 v[24:25], v[230:231], v[4:5]
	v_mul_f64_e32 v[30:31], v[246:247], v[80:81]
	v_mul_f64_e32 v[10:11], v[22:23], v[0:1]
	s_wait_dscnt 0x9
	v_mul_f64_e32 v[26:27], v[18:19], v[86:87]
	v_mul_f64_e32 v[28:29], v[18:19], v[84:85]
	s_wait_dscnt 0x8
	v_mul_f64_e32 v[32:33], v[22:23], v[90:91]
	v_mul_f64_e32 v[22:23], v[22:23], v[88:89]
	s_wait_dscnt 0x7
	v_mul_f64_e32 v[34:35], v[230:231], v[94:95]
	s_wait_dscnt 0x6
	v_mul_f64_e32 v[36:37], v[246:247], v[98:99]
	v_mul_f64_e32 v[38:39], v[230:231], v[92:93]
	s_wait_dscnt 0x5
	v_mul_f64_e32 v[40:41], v[18:19], v[102:103]
	v_mul_f64_e32 v[42:43], v[246:247], v[96:97]
	;; [unrolled: 1-line block ×3, first 2 shown]
	s_wait_dscnt 0x3
	v_mul_f64_e32 v[44:45], v[242:243], v[110:111]
	v_mul_f64_e32 v[46:47], v[242:243], v[108:109]
	s_wait_dscnt 0x2
	v_mul_f64_e32 v[48:49], v[238:239], v[114:115]
	s_wait_dscnt 0x1
	v_mul_f64_e32 v[50:51], v[234:235], v[118:119]
	v_mul_f64_e32 v[52:53], v[238:239], v[112:113]
	;; [unrolled: 1-line block ×3, first 2 shown]
	s_wait_dscnt 0x0
	v_mul_f64_e32 v[54:55], v[226:227], v[122:123]
	v_mul_f64_e32 v[58:59], v[226:227], v[120:121]
	s_wait_alu 0xfffe
	s_mov_b32 s2, s0
	v_fma_f64 v[8:9], v[20:21], v[0:1], v[8:9]
	v_fma_f64 v[12:13], v[228:229], v[4:5], v[12:13]
	;; [unrolled: 1-line block ×3, first 2 shown]
	v_fma_f64 v[24:25], v[228:229], v[6:7], -v[24:25]
	v_fma_f64 v[30:31], v[244:245], v[82:83], -v[30:31]
	;; [unrolled: 1-line block ×3, first 2 shown]
	v_fma_f64 v[26:27], v[16:17], v[84:85], v[26:27]
	v_fma_f64 v[28:29], v[16:17], v[86:87], -v[28:29]
	v_fma_f64 v[32:33], v[20:21], v[88:89], v[32:33]
	v_fma_f64 v[20:21], v[20:21], v[90:91], -v[22:23]
	v_fma_f64 v[22:23], v[228:229], v[92:93], v[34:35]
	v_fma_f64 v[34:35], v[244:245], v[96:97], v[36:37]
	v_fma_f64 v[36:37], v[228:229], v[94:95], -v[38:39]
	v_fma_f64 v[38:39], v[16:17], v[100:101], v[40:41]
	v_fma_f64 v[40:41], v[244:245], v[98:99], -v[42:43]
	v_fma_f64 v[16:17], v[16:17], v[102:103], -v[18:19]
	v_fma_f64 v[18:19], v[240:241], v[108:109], v[44:45]
	v_fma_f64 v[42:43], v[240:241], v[110:111], -v[46:47]
	v_fma_f64 v[44:45], v[236:237], v[112:113], v[48:49]
	v_fma_f64 v[46:47], v[232:233], v[116:117], v[50:51]
	v_fma_f64 v[48:49], v[236:237], v[114:115], -v[52:53]
	v_fma_f64 v[52:53], v[232:233], v[118:119], -v[56:57]
	v_fma_f64 v[50:51], v[224:225], v[120:121], v[54:55]
	v_fma_f64 v[54:55], v[224:225], v[122:123], -v[58:59]
	ds_load_b128 v[0:3], v153
	ds_load_b128 v[4:7], v153 offset:272
	global_wb scope:SCOPE_SE
	s_wait_dscnt 0x0
	s_barrier_signal -1
	s_barrier_wait -1
	global_inv scope:SCOPE_SE
	v_add_f64_e64 v[70:71], v[8:9], -v[12:13]
	v_add_f64_e32 v[56:57], v[12:13], v[14:15]
	v_add_f64_e64 v[78:79], v[12:13], -v[8:9]
	v_add_f64_e32 v[64:65], v[24:25], v[30:31]
	;; [unrolled: 2-line block ×3, first 2 shown]
	v_add_f64_e32 v[68:69], v[10:11], v[28:29]
	v_add_f64_e32 v[58:59], v[0:1], v[8:9]
	;; [unrolled: 1-line block ×3, first 2 shown]
	v_add_f64_e64 v[62:63], v[10:11], -v[28:29]
	v_add_f64_e32 v[72:73], v[22:23], v[34:35]
	v_add_f64_e64 v[74:75], v[26:27], -v[14:15]
	v_add_f64_e32 v[76:77], v[32:33], v[38:39]
	v_add_f64_e32 v[80:81], v[36:37], v[40:41]
	;; [unrolled: 1-line block ×3, first 2 shown]
	v_add_f64_e64 v[82:83], v[14:15], -v[26:27]
	v_add_f64_e64 v[8:9], v[8:9], -v[26:27]
	;; [unrolled: 1-line block ×3, first 2 shown]
	v_add_f64_e32 v[88:89], v[44:45], v[46:47]
	v_add_f64_e64 v[102:103], v[30:31], -v[28:29]
	v_add_f64_e32 v[94:95], v[48:49], v[52:53]
	v_add_f64_e32 v[90:91], v[18:19], v[50:51]
	;; [unrolled: 1-line block ×7, first 2 shown]
	v_add_f64_e64 v[66:67], v[24:25], -v[30:31]
	v_add_f64_e64 v[92:93], v[12:13], -v[14:15]
	;; [unrolled: 1-line block ×12, first 2 shown]
	v_fma_f64 v[56:57], v[56:57], -0.5, v[0:1]
	v_add_f64_e64 v[20:21], v[36:37], -v[20:21]
	v_fma_f64 v[64:65], v[64:65], -0.5, v[2:3]
	v_add_f64_e64 v[134:135], v[18:19], -v[44:45]
	v_fma_f64 v[0:1], v[60:61], -0.5, v[0:1]
	v_fma_f64 v[2:3], v[68:69], -0.5, v[2:3]
	v_add_f64_e32 v[12:13], v[58:59], v[12:13]
	v_add_f64_e32 v[24:25], v[86:87], v[24:25]
	v_add_f64_e64 v[18:19], v[44:45], -v[18:19]
	v_fma_f64 v[72:73], v[72:73], -0.5, v[4:5]
	v_add_f64_e64 v[138:139], v[42:43], -v[48:49]
	v_fma_f64 v[4:5], v[76:77], -0.5, v[4:5]
	v_fma_f64 v[80:81], v[80:81], -0.5, v[6:7]
	;; [unrolled: 1-line block ×3, first 2 shown]
	v_add_f64_e64 v[76:77], v[48:49], -v[52:53]
	v_add_f64_e64 v[42:43], v[48:49], -v[42:43]
	v_add_f64_e32 v[58:59], v[70:71], v[74:75]
	v_fma_f64 v[88:89], v[88:89], -0.5, v[104:105]
	v_add_f64_e32 v[70:71], v[78:79], v[82:83]
	v_fma_f64 v[94:95], v[94:95], -0.5, v[106:107]
	v_fma_f64 v[90:91], v[90:91], -0.5, v[104:105]
	v_add_f64_e64 v[104:105], v[44:45], -v[46:47]
	v_fma_f64 v[96:97], v[96:97], -0.5, v[106:107]
	v_add_f64_e64 v[106:107], v[46:47], -v[50:51]
	v_add_f64_e32 v[78:79], v[10:11], v[102:103]
	v_add_f64_e32 v[10:11], v[108:109], v[22:23]
	;; [unrolled: 1-line block ×5, first 2 shown]
	v_add_f64_e64 v[68:69], v[40:41], -v[16:17]
	v_add_f64_e32 v[74:75], v[98:99], v[100:101]
	v_add_f64_e64 v[116:117], v[38:39], -v[34:35]
	v_add_f64_e64 v[60:61], v[16:17], -v[40:41]
	;; [unrolled: 1-line block ×6, first 2 shown]
	v_fma_f64 v[48:49], v[62:63], s[8:9], v[56:57]
	v_fma_f64 v[56:57], v[62:63], s[10:11], v[56:57]
	;; [unrolled: 1-line block ×8, first 2 shown]
	v_add_f64_e32 v[12:13], v[12:13], v[14:15]
	v_fma_f64 v[100:101], v[110:111], s[8:9], v[72:73]
	v_fma_f64 v[72:73], v[110:111], s[10:11], v[72:73]
	;; [unrolled: 1-line block ×16, first 2 shown]
	v_add_f64_e32 v[14:15], v[24:25], v[30:31]
	v_add_f64_e32 v[106:107], v[18:19], v[106:107]
	;; [unrolled: 1-line block ×13, first 2 shown]
	v_fma_f64 v[24:25], v[66:67], s[0:1], v[48:49]
	s_wait_alu 0xfffe
	v_fma_f64 v[30:31], v[66:67], s[2:3], v[56:57]
	v_fma_f64 v[40:41], v[92:93], s[2:3], v[86:87]
	;; [unrolled: 1-line block ×7, first 2 shown]
	v_add_f64_e32 v[0:1], v[12:13], v[26:27]
	v_fma_f64 v[52:53], v[112:113], s[0:1], v[100:101]
	v_fma_f64 v[56:57], v[112:113], s[2:3], v[72:73]
	;; [unrolled: 1-line block ×16, first 2 shown]
	s_mov_b32 s0, 0x372fe950
	s_mov_b32 s1, 0x3fd3c6ef
	v_add_f64_e32 v[2:3], v[14:15], v[28:29]
	v_add_f64_e32 v[4:5], v[10:11], v[38:39]
	;; [unrolled: 1-line block ×5, first 2 shown]
	s_mov_b32 s3, 0x3febb67a
	s_wait_alu 0xfffe
	v_fma_f64 v[12:13], v[58:59], s[0:1], v[24:25]
	v_fma_f64 v[16:17], v[58:59], s[0:1], v[30:31]
	;; [unrolled: 1-line block ×24, first 2 shown]
	s_mov_b32 s0, 0xe8584caa
	s_mov_b32 s1, 0xbfebb67a
	s_wait_alu 0xfffe
	s_mov_b32 s2, s0
	ds_store_b128 v153, v[0:3]
	ds_store_b128 v153, v[12:15] offset:272
	ds_store_b128 v153, v[20:23] offset:544
	;; [unrolled: 1-line block ×14, first 2 shown]
	global_wb scope:SCOPE_SE
	s_wait_dscnt 0x0
	s_barrier_signal -1
	s_barrier_wait -1
	global_inv scope:SCOPE_SE
	ds_load_b128 v[0:3], v153 offset:1360
	ds_load_b128 v[4:7], v153 offset:2720
	;; [unrolled: 1-line block ×11, first 2 shown]
	s_clause 0x4
	scratch_load_b128 v[84:87], off, off th:TH_LOAD_LU
	scratch_load_b128 v[90:93], off, off offset:32 th:TH_LOAD_LU
	scratch_load_b128 v[96:99], off, off offset:64 th:TH_LOAD_LU
	;; [unrolled: 1-line block ×4, first 2 shown]
	s_wait_dscnt 0x9
	v_mul_f64_e32 v[44:45], v[254:255], v[6:7]
	v_mul_f64_e32 v[46:47], v[254:255], v[4:5]
	s_delay_alu instid0(VALU_DEP_2) | instskip(NEXT) | instid1(VALU_DEP_2)
	v_fma_f64 v[44:45], v[252:253], v[4:5], v[44:45]
	v_fma_f64 v[46:47], v[252:253], v[6:7], -v[46:47]
	ds_load_b128 v[4:7], v153 offset:272
	s_wait_loadcnt 0x4
	v_mul_f64_e32 v[40:41], v[86:87], v[2:3]
	v_mul_f64_e32 v[42:43], v[86:87], v[0:1]
	scratch_load_b128 v[86:89], off, off offset:16 th:TH_LOAD_LU ; 16-byte Folded Reload
	s_wait_loadcnt_dscnt 0x409
	v_mul_f64_e32 v[48:49], v[92:93], v[10:11]
	v_mul_f64_e32 v[50:51], v[92:93], v[8:9]
	scratch_load_b128 v[92:95], off, off offset:48 th:TH_LOAD_LU ; 16-byte Folded Reload
	s_wait_loadcnt_dscnt 0x407
	;; [unrolled: 4-line block ×4, first 2 shown]
	v_mul_f64_e32 v[72:73], v[110:111], v[34:35]
	v_mul_f64_e32 v[76:77], v[110:111], v[32:33]
	v_fma_f64 v[40:41], v[84:85], v[0:1], v[40:41]
	v_fma_f64 v[42:43], v[84:85], v[2:3], -v[42:43]
	ds_load_b128 v[0:3], v153
	v_fma_f64 v[48:49], v[90:91], v[8:9], v[48:49]
	v_fma_f64 v[50:51], v[90:91], v[10:11], -v[50:51]
	v_fma_f64 v[16:17], v[96:97], v[16:17], v[56:57]
	v_fma_f64 v[18:19], v[96:97], v[18:19], -v[58:59]
	;; [unrolled: 2-line block ×4, first 2 shown]
	v_add_f64_e32 v[56:57], v[40:41], v[44:45]
	v_add_f64_e32 v[58:59], v[42:43], v[46:47]
	s_wait_dscnt 0x0
	v_add_f64_e32 v[76:77], v[0:1], v[40:41]
	v_add_f64_e32 v[84:85], v[4:5], v[48:49]
	v_add_f64_e64 v[40:41], v[40:41], -v[44:45]
	v_add_f64_e32 v[96:97], v[80:81], v[32:33]
	v_fma_f64 v[56:57], v[56:57], -0.5, v[0:1]
	v_fma_f64 v[58:59], v[58:59], -0.5, v[2:3]
	v_add_f64_e32 v[0:1], v[76:77], v[44:45]
	s_wait_loadcnt 0x3
	v_mul_f64_e32 v[52:53], v[88:89], v[14:15]
	v_mul_f64_e32 v[54:55], v[88:89], v[12:13]
	s_wait_loadcnt 0x2
	v_mul_f64_e32 v[60:61], v[94:95], v[22:23]
	v_mul_f64_e32 v[62:63], v[94:95], v[20:21]
	;; [unrolled: 3-line block ×4, first 2 shown]
	v_fma_f64 v[52:53], v[86:87], v[12:13], v[52:53]
	v_fma_f64 v[54:55], v[86:87], v[14:15], -v[54:55]
	ds_load_b128 v[8:11], v153 offset:544
	ds_load_b128 v[12:15], v153 offset:816
	v_fma_f64 v[20:21], v[92:93], v[20:21], v[60:61]
	v_fma_f64 v[22:23], v[92:93], v[22:23], -v[62:63]
	v_add_f64_e32 v[86:87], v[6:7], v[50:51]
	v_fma_f64 v[28:29], v[98:99], v[28:29], v[66:67]
	v_fma_f64 v[30:31], v[98:99], v[30:31], -v[70:71]
	v_add_f64_e32 v[98:99], v[82:83], v[34:35]
	v_fma_f64 v[36:37], v[104:105], v[36:37], v[74:75]
	v_fma_f64 v[38:39], v[104:105], v[38:39], -v[78:79]
	v_add_f64_e64 v[78:79], v[42:43], -v[46:47]
	v_add_f64_e32 v[42:43], v[2:3], v[42:43]
	s_wait_dscnt 0x1
	v_add_f64_e32 v[88:89], v[8:9], v[16:17]
	s_wait_dscnt 0x0
	v_add_f64_e32 v[92:93], v[12:13], v[24:25]
	v_add_f64_e32 v[94:95], v[14:15], v[26:27]
	;; [unrolled: 1-line block ×5, first 2 shown]
	v_add_f64_e64 v[50:51], v[50:51], -v[54:55]
	v_add_f64_e32 v[64:65], v[16:17], v[20:21]
	v_add_f64_e32 v[66:67], v[18:19], v[22:23]
	v_add_f64_e64 v[48:49], v[48:49], -v[52:53]
	v_add_f64_e32 v[68:69], v[24:25], v[28:29]
	v_add_f64_e32 v[70:71], v[26:27], v[30:31]
	;; [unrolled: 3-line block ×3, first 2 shown]
	v_add_f64_e64 v[102:103], v[16:17], -v[20:21]
	v_add_f64_e64 v[104:105], v[26:27], -v[30:31]
	;; [unrolled: 1-line block ×4, first 2 shown]
	v_add_f64_e32 v[2:3], v[42:43], v[46:47]
	s_wait_alu 0xfffe
	v_fma_f64 v[24:25], v[78:79], s[2:3], v[56:57]
	v_fma_f64 v[26:27], v[40:41], s[0:1], v[58:59]
	v_add_f64_e32 v[16:17], v[96:97], v[36:37]
	v_add_f64_e32 v[18:19], v[98:99], v[38:39]
	v_fma_f64 v[60:61], v[60:61], -0.5, v[4:5]
	v_fma_f64 v[62:63], v[62:63], -0.5, v[6:7]
	v_add_f64_e32 v[4:5], v[84:85], v[52:53]
	v_fma_f64 v[64:65], v[64:65], -0.5, v[8:9]
	v_fma_f64 v[66:67], v[66:67], -0.5, v[10:11]
	v_add_f64_e32 v[6:7], v[86:87], v[54:55]
	v_fma_f64 v[68:69], v[68:69], -0.5, v[12:13]
	v_fma_f64 v[70:71], v[70:71], -0.5, v[14:15]
	v_add_f64_e32 v[12:13], v[92:93], v[28:29]
	v_fma_f64 v[72:73], v[72:73], -0.5, v[80:81]
	v_add_f64_e64 v[80:81], v[32:33], -v[36:37]
	v_fma_f64 v[74:75], v[74:75], -0.5, v[82:83]
	v_add_f64_e32 v[14:15], v[94:95], v[30:31]
	v_add_f64_e32 v[8:9], v[88:89], v[20:21]
	;; [unrolled: 1-line block ×3, first 2 shown]
	v_fma_f64 v[20:21], v[78:79], s[0:1], v[56:57]
	v_fma_f64 v[22:23], v[40:41], s[2:3], v[58:59]
	v_fma_f64 v[28:29], v[50:51], s[0:1], v[60:61]
	v_fma_f64 v[30:31], v[48:49], s[2:3], v[62:63]
	v_fma_f64 v[32:33], v[50:51], s[2:3], v[60:61]
	v_fma_f64 v[34:35], v[48:49], s[0:1], v[62:63]
	v_fma_f64 v[36:37], v[100:101], s[0:1], v[64:65]
	v_fma_f64 v[38:39], v[102:103], s[2:3], v[66:67]
	v_fma_f64 v[40:41], v[100:101], s[2:3], v[64:65]
	v_fma_f64 v[42:43], v[102:103], s[0:1], v[66:67]
	v_fma_f64 v[44:45], v[104:105], s[0:1], v[68:69]
	v_fma_f64 v[46:47], v[106:107], s[2:3], v[70:71]
	v_fma_f64 v[48:49], v[104:105], s[2:3], v[68:69]
	v_fma_f64 v[50:51], v[106:107], s[0:1], v[70:71]
	v_fma_f64 v[52:53], v[108:109], s[0:1], v[72:73]
	v_fma_f64 v[54:55], v[80:81], s[2:3], v[74:75]
	v_fma_f64 v[56:57], v[108:109], s[2:3], v[72:73]
	v_fma_f64 v[58:59], v[80:81], s[0:1], v[74:75]
	ds_store_b128 v154, v[0:3]
	ds_store_b128 v154, v[4:7] offset:272
	ds_store_b128 v154, v[24:27] offset:2720
	;; [unrolled: 1-line block ×14, first 2 shown]
	global_wb scope:SCOPE_SE
	s_wait_dscnt 0x0
	s_barrier_signal -1
	s_barrier_wait -1
	global_inv scope:SCOPE_SE
	s_and_b32 exec_lo, exec_lo, vcc_lo
	s_cbranch_execz .LBB0_15
; %bb.14:
	global_load_b128 v[3:6], v152, s[12:13]
	ds_load_b128 v[7:10], v154
	s_mov_b32 s0, 0x10101010
	s_mov_b32 s1, 0x3f701010
	v_lshl_add_u32 v2, v251, 4, v152
	s_mul_u64 s[2:3], s[4:5], 0xf0
	ds_load_b128 v[11:14], v2 offset:240
	s_wait_loadcnt_dscnt 0x1
	v_mul_f64_e32 v[0:1], v[9:10], v[5:6]
	v_mul_f64_e32 v[5:6], v[7:8], v[5:6]
	s_delay_alu instid0(VALU_DEP_2) | instskip(NEXT) | instid1(VALU_DEP_2)
	v_fma_f64 v[0:1], v[7:8], v[3:4], v[0:1]
	v_fma_f64 v[5:6], v[3:4], v[9:10], -v[5:6]
	v_mad_co_u64_u32 v[7:8], null, s6, v206, 0
	v_mad_co_u64_u32 v[9:10], null, s4, v250, 0
	s_wait_alu 0xfffe
	s_delay_alu instid0(VALU_DEP_4) | instskip(NEXT) | instid1(VALU_DEP_4)
	v_mul_f64_e32 v[3:4], s[0:1], v[0:1]
	v_mul_f64_e32 v[5:6], s[0:1], v[5:6]
	s_delay_alu instid0(VALU_DEP_3) | instskip(NEXT) | instid1(VALU_DEP_1)
	v_dual_mov_b32 v0, v8 :: v_dual_mov_b32 v1, v10
	v_mad_co_u64_u32 v[15:16], null, s7, v206, v[0:1]
	v_mad_co_u64_u32 v[0:1], null, s5, v250, v[1:2]
	s_delay_alu instid0(VALU_DEP_2) | instskip(NEXT) | instid1(VALU_DEP_2)
	v_mov_b32_e32 v8, v15
	v_mov_b32_e32 v10, v0
	s_delay_alu instid0(VALU_DEP_2) | instskip(NEXT) | instid1(VALU_DEP_2)
	v_lshlrev_b64_e32 v[0:1], 4, v[7:8]
	v_lshlrev_b64_e32 v[7:8], 4, v[9:10]
	s_delay_alu instid0(VALU_DEP_2) | instskip(NEXT) | instid1(VALU_DEP_3)
	v_add_co_u32 v0, vcc_lo, s14, v0
	v_add_co_ci_u32_e32 v1, vcc_lo, s15, v1, vcc_lo
	s_delay_alu instid0(VALU_DEP_2) | instskip(SKIP_1) | instid1(VALU_DEP_2)
	v_add_co_u32 v7, vcc_lo, v0, v7
	s_wait_alu 0xfffd
	v_add_co_ci_u32_e32 v8, vcc_lo, v1, v8, vcc_lo
	s_delay_alu instid0(VALU_DEP_2)
	v_add_co_u32 v15, vcc_lo, v7, s2
	global_store_b128 v[7:8], v[3:6], off
	global_load_b128 v[3:6], v152, s[12:13] offset:240
	s_wait_alu 0xfffd
	v_add_co_ci_u32_e32 v16, vcc_lo, s3, v8, vcc_lo
	s_wait_loadcnt_dscnt 0x0
	v_mul_f64_e32 v[9:10], v[13:14], v[5:6]
	v_mul_f64_e32 v[5:6], v[11:12], v[5:6]
	s_delay_alu instid0(VALU_DEP_2) | instskip(NEXT) | instid1(VALU_DEP_2)
	v_fma_f64 v[9:10], v[11:12], v[3:4], v[9:10]
	v_fma_f64 v[5:6], v[3:4], v[13:14], -v[5:6]
	s_delay_alu instid0(VALU_DEP_2) | instskip(NEXT) | instid1(VALU_DEP_2)
	v_mul_f64_e32 v[3:4], s[0:1], v[9:10]
	v_mul_f64_e32 v[5:6], s[0:1], v[5:6]
	global_store_b128 v[15:16], v[3:6], off
	global_load_b128 v[3:6], v152, s[12:13] offset:480
	ds_load_b128 v[7:10], v2 offset:480
	ds_load_b128 v[11:14], v2 offset:720
	s_wait_loadcnt_dscnt 0x1
	v_mul_f64_e32 v[17:18], v[9:10], v[5:6]
	v_mul_f64_e32 v[5:6], v[7:8], v[5:6]
	s_delay_alu instid0(VALU_DEP_2) | instskip(NEXT) | instid1(VALU_DEP_2)
	v_fma_f64 v[7:8], v[7:8], v[3:4], v[17:18]
	v_fma_f64 v[5:6], v[3:4], v[9:10], -v[5:6]
	s_delay_alu instid0(VALU_DEP_2) | instskip(NEXT) | instid1(VALU_DEP_2)
	v_mul_f64_e32 v[3:4], s[0:1], v[7:8]
	v_mul_f64_e32 v[5:6], s[0:1], v[5:6]
	v_add_co_u32 v7, vcc_lo, v15, s2
	s_wait_alu 0xfffd
	v_add_co_ci_u32_e32 v8, vcc_lo, s3, v16, vcc_lo
	s_delay_alu instid0(VALU_DEP_2) | instskip(SKIP_1) | instid1(VALU_DEP_2)
	v_add_co_u32 v15, vcc_lo, v7, s2
	s_wait_alu 0xfffd
	v_add_co_ci_u32_e32 v16, vcc_lo, s3, v8, vcc_lo
	global_store_b128 v[7:8], v[3:6], off
	global_load_b128 v[3:6], v152, s[12:13] offset:720
	s_wait_loadcnt_dscnt 0x0
	v_mul_f64_e32 v[9:10], v[13:14], v[5:6]
	v_mul_f64_e32 v[5:6], v[11:12], v[5:6]
	s_delay_alu instid0(VALU_DEP_2) | instskip(NEXT) | instid1(VALU_DEP_2)
	v_fma_f64 v[9:10], v[11:12], v[3:4], v[9:10]
	v_fma_f64 v[5:6], v[3:4], v[13:14], -v[5:6]
	s_delay_alu instid0(VALU_DEP_2) | instskip(NEXT) | instid1(VALU_DEP_2)
	v_mul_f64_e32 v[3:4], s[0:1], v[9:10]
	v_mul_f64_e32 v[5:6], s[0:1], v[5:6]
	global_store_b128 v[15:16], v[3:6], off
	global_load_b128 v[3:6], v152, s[12:13] offset:960
	ds_load_b128 v[7:10], v2 offset:960
	ds_load_b128 v[11:14], v2 offset:1200
	s_wait_loadcnt_dscnt 0x1
	v_mul_f64_e32 v[17:18], v[9:10], v[5:6]
	v_mul_f64_e32 v[5:6], v[7:8], v[5:6]
	s_delay_alu instid0(VALU_DEP_2) | instskip(NEXT) | instid1(VALU_DEP_2)
	v_fma_f64 v[7:8], v[7:8], v[3:4], v[17:18]
	v_fma_f64 v[5:6], v[3:4], v[9:10], -v[5:6]
	s_delay_alu instid0(VALU_DEP_2) | instskip(NEXT) | instid1(VALU_DEP_2)
	v_mul_f64_e32 v[3:4], s[0:1], v[7:8]
	v_mul_f64_e32 v[5:6], s[0:1], v[5:6]
	v_add_co_u32 v7, vcc_lo, v15, s2
	s_wait_alu 0xfffd
	v_add_co_ci_u32_e32 v8, vcc_lo, s3, v16, vcc_lo
	s_delay_alu instid0(VALU_DEP_2) | instskip(SKIP_1) | instid1(VALU_DEP_2)
	v_add_co_u32 v15, vcc_lo, v7, s2
	s_wait_alu 0xfffd
	v_add_co_ci_u32_e32 v16, vcc_lo, s3, v8, vcc_lo
	global_store_b128 v[7:8], v[3:6], off
	global_load_b128 v[3:6], v152, s[12:13] offset:1200
	s_wait_loadcnt_dscnt 0x0
	v_mul_f64_e32 v[9:10], v[13:14], v[5:6]
	v_mul_f64_e32 v[5:6], v[11:12], v[5:6]
	s_delay_alu instid0(VALU_DEP_2) | instskip(NEXT) | instid1(VALU_DEP_2)
	v_fma_f64 v[9:10], v[11:12], v[3:4], v[9:10]
	v_fma_f64 v[5:6], v[3:4], v[13:14], -v[5:6]
	s_delay_alu instid0(VALU_DEP_2) | instskip(NEXT) | instid1(VALU_DEP_2)
	v_mul_f64_e32 v[3:4], s[0:1], v[9:10]
	v_mul_f64_e32 v[5:6], s[0:1], v[5:6]
	global_store_b128 v[15:16], v[3:6], off
	global_load_b128 v[3:6], v152, s[12:13] offset:1440
	ds_load_b128 v[7:10], v2 offset:1440
	ds_load_b128 v[11:14], v2 offset:1680
	s_wait_loadcnt_dscnt 0x1
	v_mul_f64_e32 v[17:18], v[9:10], v[5:6]
	v_mul_f64_e32 v[5:6], v[7:8], v[5:6]
	s_delay_alu instid0(VALU_DEP_2) | instskip(NEXT) | instid1(VALU_DEP_2)
	v_fma_f64 v[7:8], v[7:8], v[3:4], v[17:18]
	v_fma_f64 v[5:6], v[3:4], v[9:10], -v[5:6]
	s_delay_alu instid0(VALU_DEP_2) | instskip(NEXT) | instid1(VALU_DEP_2)
	v_mul_f64_e32 v[3:4], s[0:1], v[7:8]
	v_mul_f64_e32 v[5:6], s[0:1], v[5:6]
	v_add_co_u32 v7, vcc_lo, v15, s2
	s_wait_alu 0xfffd
	v_add_co_ci_u32_e32 v8, vcc_lo, s3, v16, vcc_lo
	s_delay_alu instid0(VALU_DEP_2) | instskip(SKIP_1) | instid1(VALU_DEP_2)
	v_add_co_u32 v15, vcc_lo, v7, s2
	s_wait_alu 0xfffd
	v_add_co_ci_u32_e32 v16, vcc_lo, s3, v8, vcc_lo
	global_store_b128 v[7:8], v[3:6], off
	global_load_b128 v[3:6], v152, s[12:13] offset:1680
	s_wait_loadcnt_dscnt 0x0
	v_mul_f64_e32 v[9:10], v[13:14], v[5:6]
	v_mul_f64_e32 v[5:6], v[11:12], v[5:6]
	s_delay_alu instid0(VALU_DEP_2) | instskip(NEXT) | instid1(VALU_DEP_2)
	v_fma_f64 v[9:10], v[11:12], v[3:4], v[9:10]
	v_fma_f64 v[5:6], v[3:4], v[13:14], -v[5:6]
	s_delay_alu instid0(VALU_DEP_2) | instskip(NEXT) | instid1(VALU_DEP_2)
	v_mul_f64_e32 v[3:4], s[0:1], v[9:10]
	v_mul_f64_e32 v[5:6], s[0:1], v[5:6]
	global_store_b128 v[15:16], v[3:6], off
	global_load_b128 v[3:6], v152, s[12:13] offset:1920
	ds_load_b128 v[7:10], v2 offset:1920
	ds_load_b128 v[11:14], v2 offset:2160
	s_wait_loadcnt_dscnt 0x1
	v_mul_f64_e32 v[17:18], v[9:10], v[5:6]
	v_mul_f64_e32 v[5:6], v[7:8], v[5:6]
	s_delay_alu instid0(VALU_DEP_2) | instskip(NEXT) | instid1(VALU_DEP_2)
	v_fma_f64 v[7:8], v[7:8], v[3:4], v[17:18]
	v_fma_f64 v[5:6], v[3:4], v[9:10], -v[5:6]
	s_delay_alu instid0(VALU_DEP_2) | instskip(NEXT) | instid1(VALU_DEP_2)
	v_mul_f64_e32 v[3:4], s[0:1], v[7:8]
	v_mul_f64_e32 v[5:6], s[0:1], v[5:6]
	v_add_co_u32 v7, vcc_lo, v15, s2
	s_wait_alu 0xfffd
	v_add_co_ci_u32_e32 v8, vcc_lo, s3, v16, vcc_lo
	s_delay_alu instid0(VALU_DEP_2) | instskip(SKIP_1) | instid1(VALU_DEP_2)
	v_add_co_u32 v15, vcc_lo, v7, s2
	s_wait_alu 0xfffd
	v_add_co_ci_u32_e32 v16, vcc_lo, s3, v8, vcc_lo
	global_store_b128 v[7:8], v[3:6], off
	global_load_b128 v[3:6], v152, s[12:13] offset:2160
	s_wait_loadcnt_dscnt 0x0
	v_mul_f64_e32 v[9:10], v[13:14], v[5:6]
	v_mul_f64_e32 v[5:6], v[11:12], v[5:6]
	s_delay_alu instid0(VALU_DEP_2) | instskip(NEXT) | instid1(VALU_DEP_2)
	v_fma_f64 v[9:10], v[11:12], v[3:4], v[9:10]
	v_fma_f64 v[5:6], v[3:4], v[13:14], -v[5:6]
	s_delay_alu instid0(VALU_DEP_2) | instskip(NEXT) | instid1(VALU_DEP_2)
	v_mul_f64_e32 v[3:4], s[0:1], v[9:10]
	v_mul_f64_e32 v[5:6], s[0:1], v[5:6]
	global_store_b128 v[15:16], v[3:6], off
	global_load_b128 v[3:6], v152, s[12:13] offset:2400
	ds_load_b128 v[7:10], v2 offset:2400
	ds_load_b128 v[11:14], v2 offset:2640
	s_wait_loadcnt_dscnt 0x1
	v_mul_f64_e32 v[17:18], v[9:10], v[5:6]
	v_mul_f64_e32 v[5:6], v[7:8], v[5:6]
	s_delay_alu instid0(VALU_DEP_2) | instskip(NEXT) | instid1(VALU_DEP_2)
	v_fma_f64 v[7:8], v[7:8], v[3:4], v[17:18]
	v_fma_f64 v[5:6], v[3:4], v[9:10], -v[5:6]
	s_delay_alu instid0(VALU_DEP_2) | instskip(NEXT) | instid1(VALU_DEP_2)
	v_mul_f64_e32 v[3:4], s[0:1], v[7:8]
	v_mul_f64_e32 v[5:6], s[0:1], v[5:6]
	v_add_co_u32 v7, vcc_lo, v15, s2
	s_wait_alu 0xfffd
	v_add_co_ci_u32_e32 v8, vcc_lo, s3, v16, vcc_lo
	s_delay_alu instid0(VALU_DEP_2) | instskip(SKIP_1) | instid1(VALU_DEP_2)
	v_add_co_u32 v15, vcc_lo, v7, s2
	s_wait_alu 0xfffd
	v_add_co_ci_u32_e32 v16, vcc_lo, s3, v8, vcc_lo
	global_store_b128 v[7:8], v[3:6], off
	global_load_b128 v[3:6], v152, s[12:13] offset:2640
	s_wait_loadcnt_dscnt 0x0
	v_mul_f64_e32 v[9:10], v[13:14], v[5:6]
	v_mul_f64_e32 v[5:6], v[11:12], v[5:6]
	s_delay_alu instid0(VALU_DEP_2) | instskip(NEXT) | instid1(VALU_DEP_2)
	v_fma_f64 v[9:10], v[11:12], v[3:4], v[9:10]
	v_fma_f64 v[5:6], v[3:4], v[13:14], -v[5:6]
	s_delay_alu instid0(VALU_DEP_2) | instskip(NEXT) | instid1(VALU_DEP_2)
	v_mul_f64_e32 v[3:4], s[0:1], v[9:10]
	v_mul_f64_e32 v[5:6], s[0:1], v[5:6]
	global_store_b128 v[15:16], v[3:6], off
	global_load_b128 v[3:6], v152, s[12:13] offset:2880
	ds_load_b128 v[7:10], v2 offset:2880
	ds_load_b128 v[11:14], v2 offset:3120
	s_wait_loadcnt_dscnt 0x1
	v_mul_f64_e32 v[17:18], v[9:10], v[5:6]
	v_mul_f64_e32 v[5:6], v[7:8], v[5:6]
	s_delay_alu instid0(VALU_DEP_2) | instskip(NEXT) | instid1(VALU_DEP_2)
	v_fma_f64 v[7:8], v[7:8], v[3:4], v[17:18]
	v_fma_f64 v[5:6], v[3:4], v[9:10], -v[5:6]
	s_delay_alu instid0(VALU_DEP_2) | instskip(NEXT) | instid1(VALU_DEP_2)
	v_mul_f64_e32 v[3:4], s[0:1], v[7:8]
	v_mul_f64_e32 v[5:6], s[0:1], v[5:6]
	v_add_co_u32 v7, vcc_lo, v15, s2
	s_wait_alu 0xfffd
	v_add_co_ci_u32_e32 v8, vcc_lo, s3, v16, vcc_lo
	s_delay_alu instid0(VALU_DEP_2) | instskip(SKIP_1) | instid1(VALU_DEP_2)
	v_add_co_u32 v15, vcc_lo, v7, s2
	s_wait_alu 0xfffd
	v_add_co_ci_u32_e32 v16, vcc_lo, s3, v8, vcc_lo
	global_store_b128 v[7:8], v[3:6], off
	global_load_b128 v[3:6], v152, s[12:13] offset:3120
	s_wait_loadcnt_dscnt 0x0
	v_mul_f64_e32 v[9:10], v[13:14], v[5:6]
	v_mul_f64_e32 v[5:6], v[11:12], v[5:6]
	s_delay_alu instid0(VALU_DEP_2) | instskip(NEXT) | instid1(VALU_DEP_2)
	v_fma_f64 v[9:10], v[11:12], v[3:4], v[9:10]
	v_fma_f64 v[5:6], v[3:4], v[13:14], -v[5:6]
	s_delay_alu instid0(VALU_DEP_2) | instskip(NEXT) | instid1(VALU_DEP_2)
	v_mul_f64_e32 v[3:4], s[0:1], v[9:10]
	v_mul_f64_e32 v[5:6], s[0:1], v[5:6]
	global_store_b128 v[15:16], v[3:6], off
	global_load_b128 v[3:6], v152, s[12:13] offset:3360
	ds_load_b128 v[7:10], v2 offset:3360
	ds_load_b128 v[11:14], v2 offset:3600
	s_wait_loadcnt_dscnt 0x1
	v_mul_f64_e32 v[17:18], v[9:10], v[5:6]
	v_mul_f64_e32 v[5:6], v[7:8], v[5:6]
	s_delay_alu instid0(VALU_DEP_2) | instskip(NEXT) | instid1(VALU_DEP_2)
	v_fma_f64 v[7:8], v[7:8], v[3:4], v[17:18]
	v_fma_f64 v[5:6], v[3:4], v[9:10], -v[5:6]
	s_delay_alu instid0(VALU_DEP_2) | instskip(NEXT) | instid1(VALU_DEP_2)
	v_mul_f64_e32 v[3:4], s[0:1], v[7:8]
	v_mul_f64_e32 v[5:6], s[0:1], v[5:6]
	v_add_co_u32 v7, vcc_lo, v15, s2
	s_wait_alu 0xfffd
	v_add_co_ci_u32_e32 v8, vcc_lo, s3, v16, vcc_lo
	global_store_b128 v[7:8], v[3:6], off
	global_load_b128 v[3:6], v152, s[12:13] offset:3600
	v_add_co_u32 v7, vcc_lo, v7, s2
	s_wait_alu 0xfffd
	v_add_co_ci_u32_e32 v8, vcc_lo, s3, v8, vcc_lo
	s_wait_loadcnt_dscnt 0x0
	v_mul_f64_e32 v[9:10], v[13:14], v[5:6]
	v_mul_f64_e32 v[5:6], v[11:12], v[5:6]
	s_delay_alu instid0(VALU_DEP_2) | instskip(NEXT) | instid1(VALU_DEP_2)
	v_fma_f64 v[9:10], v[11:12], v[3:4], v[9:10]
	v_fma_f64 v[5:6], v[3:4], v[13:14], -v[5:6]
	s_delay_alu instid0(VALU_DEP_2) | instskip(NEXT) | instid1(VALU_DEP_2)
	v_mul_f64_e32 v[3:4], s[0:1], v[9:10]
	v_mul_f64_e32 v[5:6], s[0:1], v[5:6]
	global_store_b128 v[7:8], v[3:6], off
	global_load_b128 v[3:6], v152, s[12:13] offset:3840
	ds_load_b128 v[7:10], v2 offset:3840
	s_wait_loadcnt_dscnt 0x0
	v_mul_f64_e32 v[11:12], v[9:10], v[5:6]
	v_mul_f64_e32 v[5:6], v[7:8], v[5:6]
	s_delay_alu instid0(VALU_DEP_2) | instskip(NEXT) | instid1(VALU_DEP_2)
	v_fma_f64 v[7:8], v[7:8], v[3:4], v[11:12]
	v_fma_f64 v[4:5], v[3:4], v[9:10], -v[5:6]
	v_mad_co_u64_u32 v[9:10], null, s4, v205, 0
	s_delay_alu instid0(VALU_DEP_1) | instskip(NEXT) | instid1(VALU_DEP_4)
	v_mov_b32_e32 v6, v10
	v_mul_f64_e32 v[2:3], s[0:1], v[7:8]
	s_delay_alu instid0(VALU_DEP_4) | instskip(NEXT) | instid1(VALU_DEP_3)
	v_mul_f64_e32 v[4:5], s[0:1], v[4:5]
	v_mad_co_u64_u32 v[6:7], null, s5, v205, v[6:7]
	s_delay_alu instid0(VALU_DEP_1) | instskip(NEXT) | instid1(VALU_DEP_1)
	v_mov_b32_e32 v10, v6
	v_lshlrev_b64_e32 v[6:7], 4, v[9:10]
	s_delay_alu instid0(VALU_DEP_1) | instskip(SKIP_1) | instid1(VALU_DEP_2)
	v_add_co_u32 v0, vcc_lo, v0, v6
	s_wait_alu 0xfffd
	v_add_co_ci_u32_e32 v1, vcc_lo, v1, v7, vcc_lo
	global_store_b128 v[0:1], v[2:5], off
.LBB0_15:
	s_nop 0
	s_sendmsg sendmsg(MSG_DEALLOC_VGPRS)
	s_endpgm
	.section	.rodata,"a",@progbits
	.p2align	6, 0x0
	.amdhsa_kernel bluestein_single_back_len255_dim1_dp_op_CI_CI
		.amdhsa_group_segment_fixed_size 12240
		.amdhsa_private_segment_fixed_size 388
		.amdhsa_kernarg_size 104
		.amdhsa_user_sgpr_count 2
		.amdhsa_user_sgpr_dispatch_ptr 0
		.amdhsa_user_sgpr_queue_ptr 0
		.amdhsa_user_sgpr_kernarg_segment_ptr 1
		.amdhsa_user_sgpr_dispatch_id 0
		.amdhsa_user_sgpr_private_segment_size 0
		.amdhsa_wavefront_size32 1
		.amdhsa_uses_dynamic_stack 0
		.amdhsa_enable_private_segment 1
		.amdhsa_system_sgpr_workgroup_id_x 1
		.amdhsa_system_sgpr_workgroup_id_y 0
		.amdhsa_system_sgpr_workgroup_id_z 0
		.amdhsa_system_sgpr_workgroup_info 0
		.amdhsa_system_vgpr_workitem_id 0
		.amdhsa_next_free_vgpr 256
		.amdhsa_next_free_sgpr 58
		.amdhsa_reserve_vcc 1
		.amdhsa_float_round_mode_32 0
		.amdhsa_float_round_mode_16_64 0
		.amdhsa_float_denorm_mode_32 3
		.amdhsa_float_denorm_mode_16_64 3
		.amdhsa_fp16_overflow 0
		.amdhsa_workgroup_processor_mode 1
		.amdhsa_memory_ordered 1
		.amdhsa_forward_progress 0
		.amdhsa_round_robin_scheduling 0
		.amdhsa_exception_fp_ieee_invalid_op 0
		.amdhsa_exception_fp_denorm_src 0
		.amdhsa_exception_fp_ieee_div_zero 0
		.amdhsa_exception_fp_ieee_overflow 0
		.amdhsa_exception_fp_ieee_underflow 0
		.amdhsa_exception_fp_ieee_inexact 0
		.amdhsa_exception_int_div_zero 0
	.end_amdhsa_kernel
	.text
.Lfunc_end0:
	.size	bluestein_single_back_len255_dim1_dp_op_CI_CI, .Lfunc_end0-bluestein_single_back_len255_dim1_dp_op_CI_CI
                                        ; -- End function
	.section	.AMDGPU.csdata,"",@progbits
; Kernel info:
; codeLenInByte = 22460
; NumSgprs: 60
; NumVgprs: 256
; ScratchSize: 388
; MemoryBound: 0
; FloatMode: 240
; IeeeMode: 1
; LDSByteSize: 12240 bytes/workgroup (compile time only)
; SGPRBlocks: 7
; VGPRBlocks: 31
; NumSGPRsForWavesPerEU: 60
; NumVGPRsForWavesPerEU: 256
; Occupancy: 5
; WaveLimiterHint : 1
; COMPUTE_PGM_RSRC2:SCRATCH_EN: 1
; COMPUTE_PGM_RSRC2:USER_SGPR: 2
; COMPUTE_PGM_RSRC2:TRAP_HANDLER: 0
; COMPUTE_PGM_RSRC2:TGID_X_EN: 1
; COMPUTE_PGM_RSRC2:TGID_Y_EN: 0
; COMPUTE_PGM_RSRC2:TGID_Z_EN: 0
; COMPUTE_PGM_RSRC2:TIDIG_COMP_CNT: 0
	.text
	.p2alignl 7, 3214868480
	.fill 96, 4, 3214868480
	.type	__hip_cuid_1626fc92504e30b2,@object ; @__hip_cuid_1626fc92504e30b2
	.section	.bss,"aw",@nobits
	.globl	__hip_cuid_1626fc92504e30b2
__hip_cuid_1626fc92504e30b2:
	.byte	0                               ; 0x0
	.size	__hip_cuid_1626fc92504e30b2, 1

	.ident	"AMD clang version 19.0.0git (https://github.com/RadeonOpenCompute/llvm-project roc-6.4.0 25133 c7fe45cf4b819c5991fe208aaa96edf142730f1d)"
	.section	".note.GNU-stack","",@progbits
	.addrsig
	.addrsig_sym __hip_cuid_1626fc92504e30b2
	.amdgpu_metadata
---
amdhsa.kernels:
  - .args:
      - .actual_access:  read_only
        .address_space:  global
        .offset:         0
        .size:           8
        .value_kind:     global_buffer
      - .actual_access:  read_only
        .address_space:  global
        .offset:         8
        .size:           8
        .value_kind:     global_buffer
      - .actual_access:  read_only
        .address_space:  global
        .offset:         16
        .size:           8
        .value_kind:     global_buffer
      - .actual_access:  read_only
        .address_space:  global
        .offset:         24
        .size:           8
        .value_kind:     global_buffer
      - .actual_access:  read_only
        .address_space:  global
        .offset:         32
        .size:           8
        .value_kind:     global_buffer
      - .offset:         40
        .size:           8
        .value_kind:     by_value
      - .address_space:  global
        .offset:         48
        .size:           8
        .value_kind:     global_buffer
      - .address_space:  global
        .offset:         56
        .size:           8
        .value_kind:     global_buffer
      - .address_space:  global
        .offset:         64
        .size:           8
        .value_kind:     global_buffer
      - .address_space:  global
        .offset:         72
        .size:           8
        .value_kind:     global_buffer
      - .offset:         80
        .size:           4
        .value_kind:     by_value
      - .address_space:  global
        .offset:         88
        .size:           8
        .value_kind:     global_buffer
      - .address_space:  global
        .offset:         96
        .size:           8
        .value_kind:     global_buffer
    .group_segment_fixed_size: 12240
    .kernarg_segment_align: 8
    .kernarg_segment_size: 104
    .language:       OpenCL C
    .language_version:
      - 2
      - 0
    .max_flat_workgroup_size: 51
    .name:           bluestein_single_back_len255_dim1_dp_op_CI_CI
    .private_segment_fixed_size: 388
    .sgpr_count:     60
    .sgpr_spill_count: 0
    .symbol:         bluestein_single_back_len255_dim1_dp_op_CI_CI.kd
    .uniform_work_group_size: 1
    .uses_dynamic_stack: false
    .vgpr_count:     256
    .vgpr_spill_count: 96
    .wavefront_size: 32
    .workgroup_processor_mode: 1
amdhsa.target:   amdgcn-amd-amdhsa--gfx1201
amdhsa.version:
  - 1
  - 2
...

	.end_amdgpu_metadata
